;; amdgpu-corpus repo=ROCm/rocFFT kind=compiled arch=gfx1030 opt=O3
	.text
	.amdgcn_target "amdgcn-amd-amdhsa--gfx1030"
	.amdhsa_code_object_version 6
	.protected	fft_rtc_fwd_len1428_factors_17_2_7_6_wgs_119_tpt_119_halfLds_half_op_CI_CI_unitstride_sbrr_C2R_dirReg ; -- Begin function fft_rtc_fwd_len1428_factors_17_2_7_6_wgs_119_tpt_119_halfLds_half_op_CI_CI_unitstride_sbrr_C2R_dirReg
	.globl	fft_rtc_fwd_len1428_factors_17_2_7_6_wgs_119_tpt_119_halfLds_half_op_CI_CI_unitstride_sbrr_C2R_dirReg
	.p2align	8
	.type	fft_rtc_fwd_len1428_factors_17_2_7_6_wgs_119_tpt_119_halfLds_half_op_CI_CI_unitstride_sbrr_C2R_dirReg,@function
fft_rtc_fwd_len1428_factors_17_2_7_6_wgs_119_tpt_119_halfLds_half_op_CI_CI_unitstride_sbrr_C2R_dirReg: ; @fft_rtc_fwd_len1428_factors_17_2_7_6_wgs_119_tpt_119_halfLds_half_op_CI_CI_unitstride_sbrr_C2R_dirReg
; %bb.0:
	s_clause 0x2
	s_load_dwordx4 s[12:15], s[4:5], 0x0
	s_load_dwordx4 s[8:11], s[4:5], 0x58
	;; [unrolled: 1-line block ×3, first 2 shown]
	v_mul_u32_u24_e32 v1, 0x227, v0
	v_mov_b32_e32 v3, 0
	v_mov_b32_e32 v7, 0
	;; [unrolled: 1-line block ×3, first 2 shown]
	v_add_nc_u32_sdwa v9, s6, v1 dst_sel:DWORD dst_unused:UNUSED_PAD src0_sel:DWORD src1_sel:WORD_1
	v_mov_b32_e32 v10, v3
	s_waitcnt lgkmcnt(0)
	v_cmp_lt_u64_e64 s0, s[14:15], 2
	s_and_b32 vcc_lo, exec_lo, s0
	s_cbranch_vccnz .LBB0_8
; %bb.1:
	s_load_dwordx2 s[0:1], s[4:5], 0x10
	v_mov_b32_e32 v7, 0
	v_mov_b32_e32 v8, 0
	s_add_u32 s2, s18, 8
	s_addc_u32 s3, s19, 0
	v_mov_b32_e32 v1, v7
	s_add_u32 s6, s16, 8
	v_mov_b32_e32 v2, v8
	s_addc_u32 s7, s17, 0
	s_mov_b64 s[22:23], 1
	s_waitcnt lgkmcnt(0)
	s_add_u32 s20, s0, 8
	s_addc_u32 s21, s1, 0
.LBB0_2:                                ; =>This Inner Loop Header: Depth=1
	s_load_dwordx2 s[24:25], s[20:21], 0x0
                                        ; implicit-def: $vgpr5_vgpr6
	s_mov_b32 s0, exec_lo
	s_waitcnt lgkmcnt(0)
	v_or_b32_e32 v4, s25, v10
	v_cmpx_ne_u64_e32 0, v[3:4]
	s_xor_b32 s1, exec_lo, s0
	s_cbranch_execz .LBB0_4
; %bb.3:                                ;   in Loop: Header=BB0_2 Depth=1
	v_cvt_f32_u32_e32 v4, s24
	v_cvt_f32_u32_e32 v5, s25
	s_sub_u32 s0, 0, s24
	s_subb_u32 s26, 0, s25
	v_fmac_f32_e32 v4, 0x4f800000, v5
	v_rcp_f32_e32 v4, v4
	v_mul_f32_e32 v4, 0x5f7ffffc, v4
	v_mul_f32_e32 v5, 0x2f800000, v4
	v_trunc_f32_e32 v5, v5
	v_fmac_f32_e32 v4, 0xcf800000, v5
	v_cvt_u32_f32_e32 v5, v5
	v_cvt_u32_f32_e32 v4, v4
	v_mul_lo_u32 v6, s0, v5
	v_mul_hi_u32 v11, s0, v4
	v_mul_lo_u32 v12, s26, v4
	v_add_nc_u32_e32 v6, v11, v6
	v_mul_lo_u32 v11, s0, v4
	v_add_nc_u32_e32 v6, v6, v12
	v_mul_hi_u32 v12, v4, v11
	v_mul_lo_u32 v13, v4, v6
	v_mul_hi_u32 v14, v4, v6
	v_mul_hi_u32 v15, v5, v11
	v_mul_lo_u32 v11, v5, v11
	v_mul_hi_u32 v16, v5, v6
	v_mul_lo_u32 v6, v5, v6
	v_add_co_u32 v12, vcc_lo, v12, v13
	v_add_co_ci_u32_e32 v13, vcc_lo, 0, v14, vcc_lo
	v_add_co_u32 v11, vcc_lo, v12, v11
	v_add_co_ci_u32_e32 v11, vcc_lo, v13, v15, vcc_lo
	v_add_co_ci_u32_e32 v12, vcc_lo, 0, v16, vcc_lo
	v_add_co_u32 v6, vcc_lo, v11, v6
	v_add_co_ci_u32_e32 v11, vcc_lo, 0, v12, vcc_lo
	v_add_co_u32 v4, vcc_lo, v4, v6
	v_add_co_ci_u32_e32 v5, vcc_lo, v5, v11, vcc_lo
	v_mul_hi_u32 v6, s0, v4
	v_mul_lo_u32 v12, s26, v4
	v_mul_lo_u32 v11, s0, v5
	v_add_nc_u32_e32 v6, v6, v11
	v_mul_lo_u32 v11, s0, v4
	v_add_nc_u32_e32 v6, v6, v12
	v_mul_hi_u32 v12, v4, v11
	v_mul_lo_u32 v13, v4, v6
	v_mul_hi_u32 v14, v4, v6
	v_mul_hi_u32 v15, v5, v11
	v_mul_lo_u32 v11, v5, v11
	v_mul_hi_u32 v16, v5, v6
	v_mul_lo_u32 v6, v5, v6
	v_add_co_u32 v12, vcc_lo, v12, v13
	v_add_co_ci_u32_e32 v13, vcc_lo, 0, v14, vcc_lo
	v_add_co_u32 v11, vcc_lo, v12, v11
	v_add_co_ci_u32_e32 v11, vcc_lo, v13, v15, vcc_lo
	v_add_co_ci_u32_e32 v12, vcc_lo, 0, v16, vcc_lo
	v_add_co_u32 v6, vcc_lo, v11, v6
	v_add_co_ci_u32_e32 v11, vcc_lo, 0, v12, vcc_lo
	v_add_co_u32 v6, vcc_lo, v4, v6
	v_add_co_ci_u32_e32 v13, vcc_lo, v5, v11, vcc_lo
	v_mul_hi_u32 v15, v9, v6
	v_mad_u64_u32 v[11:12], null, v10, v6, 0
	v_mad_u64_u32 v[4:5], null, v9, v13, 0
	;; [unrolled: 1-line block ×3, first 2 shown]
	v_add_co_u32 v4, vcc_lo, v15, v4
	v_add_co_ci_u32_e32 v5, vcc_lo, 0, v5, vcc_lo
	v_add_co_u32 v4, vcc_lo, v4, v11
	v_add_co_ci_u32_e32 v4, vcc_lo, v5, v12, vcc_lo
	v_add_co_ci_u32_e32 v5, vcc_lo, 0, v14, vcc_lo
	v_add_co_u32 v11, vcc_lo, v4, v13
	v_add_co_ci_u32_e32 v6, vcc_lo, 0, v5, vcc_lo
	v_mul_lo_u32 v12, s25, v11
	v_mad_u64_u32 v[4:5], null, s24, v11, 0
	v_mul_lo_u32 v13, s24, v6
	v_sub_co_u32 v4, vcc_lo, v9, v4
	v_add3_u32 v5, v5, v13, v12
	v_sub_nc_u32_e32 v12, v10, v5
	v_subrev_co_ci_u32_e64 v12, s0, s25, v12, vcc_lo
	v_add_co_u32 v13, s0, v11, 2
	v_add_co_ci_u32_e64 v14, s0, 0, v6, s0
	v_sub_co_u32 v15, s0, v4, s24
	v_sub_co_ci_u32_e32 v5, vcc_lo, v10, v5, vcc_lo
	v_subrev_co_ci_u32_e64 v12, s0, 0, v12, s0
	v_cmp_le_u32_e32 vcc_lo, s24, v15
	v_cmp_eq_u32_e64 s0, s25, v5
	v_cndmask_b32_e64 v15, 0, -1, vcc_lo
	v_cmp_le_u32_e32 vcc_lo, s25, v12
	v_cndmask_b32_e64 v16, 0, -1, vcc_lo
	v_cmp_le_u32_e32 vcc_lo, s24, v4
	;; [unrolled: 2-line block ×3, first 2 shown]
	v_cndmask_b32_e64 v17, 0, -1, vcc_lo
	v_cmp_eq_u32_e32 vcc_lo, s25, v12
	v_cndmask_b32_e64 v4, v17, v4, s0
	v_cndmask_b32_e32 v12, v16, v15, vcc_lo
	v_add_co_u32 v15, vcc_lo, v11, 1
	v_add_co_ci_u32_e32 v16, vcc_lo, 0, v6, vcc_lo
	v_cmp_ne_u32_e32 vcc_lo, 0, v12
	v_cndmask_b32_e32 v5, v16, v14, vcc_lo
	v_cndmask_b32_e32 v12, v15, v13, vcc_lo
	v_cmp_ne_u32_e32 vcc_lo, 0, v4
	v_cndmask_b32_e32 v6, v6, v5, vcc_lo
	v_cndmask_b32_e32 v5, v11, v12, vcc_lo
.LBB0_4:                                ;   in Loop: Header=BB0_2 Depth=1
	s_andn2_saveexec_b32 s0, s1
	s_cbranch_execz .LBB0_6
; %bb.5:                                ;   in Loop: Header=BB0_2 Depth=1
	v_cvt_f32_u32_e32 v4, s24
	s_sub_i32 s1, 0, s24
	v_rcp_iflag_f32_e32 v4, v4
	v_mul_f32_e32 v4, 0x4f7ffffe, v4
	v_cvt_u32_f32_e32 v4, v4
	v_mul_lo_u32 v5, s1, v4
	v_mul_hi_u32 v5, v4, v5
	v_add_nc_u32_e32 v4, v4, v5
	v_mul_hi_u32 v4, v9, v4
	v_mul_lo_u32 v5, v4, s24
	v_add_nc_u32_e32 v6, 1, v4
	v_sub_nc_u32_e32 v5, v9, v5
	v_subrev_nc_u32_e32 v11, s24, v5
	v_cmp_le_u32_e32 vcc_lo, s24, v5
	v_cndmask_b32_e32 v5, v5, v11, vcc_lo
	v_cndmask_b32_e32 v4, v4, v6, vcc_lo
	v_cmp_le_u32_e32 vcc_lo, s24, v5
	v_add_nc_u32_e32 v6, 1, v4
	v_cndmask_b32_e32 v5, v4, v6, vcc_lo
	v_mov_b32_e32 v6, v3
.LBB0_6:                                ;   in Loop: Header=BB0_2 Depth=1
	s_or_b32 exec_lo, exec_lo, s0
	v_mul_lo_u32 v4, v6, s24
	v_mul_lo_u32 v13, v5, s25
	s_load_dwordx2 s[0:1], s[6:7], 0x0
	v_mad_u64_u32 v[11:12], null, v5, s24, 0
	s_load_dwordx2 s[24:25], s[2:3], 0x0
	s_add_u32 s22, s22, 1
	s_addc_u32 s23, s23, 0
	s_add_u32 s2, s2, 8
	s_addc_u32 s3, s3, 0
	s_add_u32 s6, s6, 8
	v_add3_u32 v4, v12, v13, v4
	v_sub_co_u32 v9, vcc_lo, v9, v11
	s_addc_u32 s7, s7, 0
	s_add_u32 s20, s20, 8
	v_sub_co_ci_u32_e32 v4, vcc_lo, v10, v4, vcc_lo
	s_addc_u32 s21, s21, 0
	s_waitcnt lgkmcnt(0)
	v_mul_lo_u32 v10, s0, v4
	v_mul_lo_u32 v11, s1, v9
	v_mad_u64_u32 v[7:8], null, s0, v9, v[7:8]
	v_mul_lo_u32 v4, s24, v4
	v_mul_lo_u32 v12, s25, v9
	v_mad_u64_u32 v[1:2], null, s24, v9, v[1:2]
	v_cmp_ge_u64_e64 s0, s[22:23], s[14:15]
	v_add3_u32 v8, v11, v8, v10
	v_add3_u32 v2, v12, v2, v4
	s_and_b32 vcc_lo, exec_lo, s0
	s_cbranch_vccnz .LBB0_9
; %bb.7:                                ;   in Loop: Header=BB0_2 Depth=1
	v_mov_b32_e32 v10, v6
	v_mov_b32_e32 v9, v5
	s_branch .LBB0_2
.LBB0_8:
	v_mov_b32_e32 v1, v7
	v_mov_b32_e32 v5, v9
	;; [unrolled: 1-line block ×4, first 2 shown]
.LBB0_9:
	s_load_dwordx2 s[0:1], s[4:5], 0x28
	v_mul_hi_u32 v4, 0x226b903, v0
	s_lshl_b64 s[4:5], s[14:15], 3
                                        ; implicit-def: $vgpr3
	s_add_u32 s2, s18, s4
	s_addc_u32 s3, s19, s5
	s_waitcnt lgkmcnt(0)
	v_cmp_gt_u64_e32 vcc_lo, s[0:1], v[5:6]
	v_cmp_le_u64_e64 s0, s[0:1], v[5:6]
	s_and_saveexec_b32 s1, s0
	s_xor_b32 s0, exec_lo, s1
; %bb.10:
	v_mul_u32_u24_e32 v3, 0x77, v4
                                        ; implicit-def: $vgpr4
                                        ; implicit-def: $vgpr7_vgpr8
	v_sub_nc_u32_e32 v3, v0, v3
                                        ; implicit-def: $vgpr0
; %bb.11:
	s_or_saveexec_b32 s1, s0
	s_load_dwordx2 s[2:3], s[2:3], 0x0
	s_xor_b32 exec_lo, exec_lo, s1
	s_cbranch_execz .LBB0_15
; %bb.12:
	s_add_u32 s4, s16, s4
	s_addc_u32 s5, s17, s5
	v_lshlrev_b64 v[7:8], 2, v[7:8]
	s_load_dwordx2 s[4:5], s[4:5], 0x0
	s_waitcnt lgkmcnt(0)
	v_mul_lo_u32 v3, s5, v5
	v_mul_lo_u32 v11, s4, v6
	v_mad_u64_u32 v[9:10], null, s4, v5, 0
	s_mov_b32 s4, exec_lo
	v_add3_u32 v10, v10, v11, v3
	v_mul_u32_u24_e32 v3, 0x77, v4
	v_lshlrev_b64 v[9:10], 2, v[9:10]
	v_sub_nc_u32_e32 v3, v0, v3
	v_lshlrev_b32_e32 v13, 2, v3
	v_add_co_u32 v0, s0, s8, v9
	v_add_co_ci_u32_e64 v4, s0, s9, v10, s0
	v_add_co_u32 v0, s0, v0, v7
	v_add_co_ci_u32_e64 v4, s0, v4, v8, s0
	;; [unrolled: 2-line block ×5, first 2 shown]
	s_clause 0xb
	global_load_dword v14, v[7:8], off
	global_load_dword v15, v[7:8], off offset:476
	global_load_dword v16, v[7:8], off offset:952
	;; [unrolled: 1-line block ×11, first 2 shown]
	v_add_nc_u32_e32 v12, 0, v13
	v_add_nc_u32_e32 v13, 0x200, v12
	;; [unrolled: 1-line block ×6, first 2 shown]
	s_waitcnt vmcnt(10)
	ds_write2_b32 v12, v14, v15 offset1:119
	s_waitcnt vmcnt(8)
	ds_write2_b32 v13, v16, v17 offset0:110 offset1:229
	s_waitcnt vmcnt(6)
	ds_write2_b32 v21, v7, v8 offset0:92 offset1:211
	;; [unrolled: 2-line block ×5, first 2 shown]
	v_cmpx_eq_u32_e32 0x76, v3
	s_cbranch_execz .LBB0_14
; %bb.13:
	v_add_co_u32 v3, s0, 0x1000, v0
	v_add_co_ci_u32_e64 v4, s0, 0, v4, s0
	global_load_dword v0, v[3:4], off offset:1616
	v_mov_b32_e32 v4, 0
	v_mov_b32_e32 v3, 0x76
	s_waitcnt vmcnt(0)
	ds_write_b32 v4, v0 offset:5712
.LBB0_14:
	s_or_b32 exec_lo, exec_lo, s4
.LBB0_15:
	s_or_b32 exec_lo, exec_lo, s1
	v_lshlrev_b32_e32 v4, 2, v3
	s_waitcnt lgkmcnt(0)
	s_barrier
	buffer_gl0_inv
	s_add_u32 s1, s12, 0x160c
	v_add_nc_u32_e32 v0, 0, v4
	v_sub_nc_u32_e32 v9, 0, v4
	s_addc_u32 s4, s13, 0
	s_mov_b32 s5, exec_lo
                                        ; implicit-def: $vgpr7_vgpr8
	ds_read_u16 v12, v0
	ds_read_u16 v13, v9 offset:5712
	s_waitcnt lgkmcnt(0)
	v_add_f16_e32 v11, v13, v12
	v_sub_f16_e32 v10, v12, v13
	v_cmpx_ne_u32_e32 0, v3
	s_xor_b32 s5, exec_lo, s5
	s_cbranch_execz .LBB0_17
; %bb.16:
	v_mov_b32_e32 v4, 0
	v_add_f16_e32 v11, v13, v12
	v_sub_f16_e32 v12, v12, v13
	v_lshlrev_b64 v[7:8], 2, v[3:4]
	v_add_co_u32 v7, s0, s1, v7
	v_add_co_ci_u32_e64 v8, s0, s4, v8, s0
	global_load_dword v7, v[7:8], off
	ds_read_u16 v8, v9 offset:5714
	ds_read_u16 v10, v0 offset:2
	s_waitcnt lgkmcnt(0)
	v_add_f16_e32 v13, v8, v10
	v_sub_f16_e32 v8, v10, v8
	s_waitcnt vmcnt(0)
	v_lshrrev_b32_e32 v14, 16, v7
	v_fma_f16 v15, -v12, v14, v11
	v_fma_f16 v16, v13, v14, -v8
	v_fma_f16 v10, v13, v14, v8
	v_fma_f16 v11, v12, v14, v11
	v_fmac_f16_e32 v15, v7, v13
	v_fmac_f16_e32 v16, v12, v7
	;; [unrolled: 1-line block ×3, first 2 shown]
	v_fma_f16 v11, -v7, v13, v11
	v_mov_b32_e32 v8, v4
	v_mov_b32_e32 v7, v3
	v_pack_b32_f16 v12, v15, v16
	ds_write_b32 v9, v12 offset:5712
.LBB0_17:
	s_andn2_saveexec_b32 s0, s5
	s_cbranch_execz .LBB0_19
; %bb.18:
	v_mov_b32_e32 v4, 0
	ds_read_b32 v7, v4 offset:2856
	s_waitcnt lgkmcnt(0)
	v_pk_mul_f16 v12, 0xc0004000, v7
	v_mov_b32_e32 v7, 0
	v_mov_b32_e32 v8, 0
	ds_write_b32 v4, v12 offset:2856
.LBB0_19:
	s_or_b32 exec_lo, exec_lo, s0
	v_lshlrev_b64 v[7:8], 2, v[7:8]
	v_mov_b32_e32 v47, 0xbbf7
	v_mov_b32_e32 v48, 0xbbb2
	v_add_nc_u32_e32 v28, 0x600, v0
	v_add_nc_u32_e32 v27, 0xc00, v0
	v_mov_b32_e32 v45, 0xb1e1
	v_add_co_u32 v7, s0, s1, v7
	v_add_co_ci_u32_e64 v8, s0, s4, v8, s0
	v_mov_b32_e32 v25, 0x3836
	v_mov_b32_e32 v62, 0x3bb2
	;; [unrolled: 1-line block ×3, first 2 shown]
	s_clause 0x3
	global_load_dword v4, v[7:8], off offset:476
	global_load_dword v12, v[7:8], off offset:952
	;; [unrolled: 1-line block ×4, first 2 shown]
	v_add_co_u32 v7, s0, 0x800, v7
	v_add_co_ci_u32_e64 v8, s0, 0, v8, s0
	v_mov_b32_e32 v60, 0xbb29
	v_mov_b32_e32 v57, 0xb836
	;; [unrolled: 1-line block ×3, first 2 shown]
	global_load_dword v8, v[7:8], off offset:332
	v_perm_b32 v7, v10, v11, 0x5040100
	v_mov_b32_e32 v59, 0x3a62
	v_mov_b32_e32 v64, 0xb5c8
	;; [unrolled: 1-line block ×3, first 2 shown]
	s_mov_b32 s1, exec_lo
	ds_write_b32 v0, v7
	ds_read_b32 v7, v0 offset:476
	ds_read_b32 v10, v9 offset:5236
	s_waitcnt lgkmcnt(0)
	v_add_f16_e32 v11, v7, v10
	v_add_f16_sdwa v15, v10, v7 dst_sel:DWORD dst_unused:UNUSED_PAD src0_sel:WORD_1 src1_sel:WORD_1
	v_sub_f16_e32 v16, v7, v10
	v_sub_f16_sdwa v7, v7, v10 dst_sel:DWORD dst_unused:UNUSED_PAD src0_sel:WORD_1 src1_sel:WORD_1
	s_waitcnt vmcnt(4)
	v_lshrrev_b32_e32 v17, 16, v4
	v_fma_f16 v10, v16, v17, v11
	v_fma_f16 v18, v15, v17, v7
	v_fma_f16 v11, -v16, v17, v11
	v_fma_f16 v7, v15, v17, -v7
	v_fma_f16 v10, -v4, v15, v10
	v_fmac_f16_e32 v18, v16, v4
	v_fmac_f16_e32 v11, v4, v15
	;; [unrolled: 1-line block ×3, first 2 shown]
	v_pack_b32_f16 v4, v10, v18
	s_waitcnt vmcnt(3)
	v_lshrrev_b32_e32 v10, 16, v12
	v_pack_b32_f16 v7, v11, v7
	ds_write_b32 v0, v4 offset:476
	ds_write_b32 v9, v7 offset:5236
	ds_read_b32 v4, v0 offset:952
	ds_read_b32 v7, v9 offset:4760
	s_waitcnt lgkmcnt(0)
	v_add_f16_e32 v11, v4, v7
	v_add_f16_sdwa v15, v7, v4 dst_sel:DWORD dst_unused:UNUSED_PAD src0_sel:WORD_1 src1_sel:WORD_1
	v_sub_f16_e32 v16, v4, v7
	v_sub_f16_sdwa v4, v4, v7 dst_sel:DWORD dst_unused:UNUSED_PAD src0_sel:WORD_1 src1_sel:WORD_1
	v_fma_f16 v7, v16, v10, v11
	v_fma_f16 v17, v15, v10, v4
	v_fma_f16 v11, -v16, v10, v11
	v_fma_f16 v4, v15, v10, -v4
	s_waitcnt vmcnt(2)
	v_lshrrev_b32_e32 v10, 16, v13
	v_fma_f16 v7, -v12, v15, v7
	v_fmac_f16_e32 v17, v16, v12
	v_fmac_f16_e32 v11, v12, v15
	;; [unrolled: 1-line block ×3, first 2 shown]
	v_pack_b32_f16 v7, v7, v17
	v_pack_b32_f16 v4, v11, v4
	ds_write_b32 v0, v7 offset:952
	ds_write_b32 v9, v4 offset:4760
	ds_read_b32 v4, v0 offset:1428
	ds_read_b32 v7, v9 offset:4284
	s_waitcnt lgkmcnt(0)
	v_add_f16_e32 v11, v4, v7
	v_add_f16_sdwa v12, v7, v4 dst_sel:DWORD dst_unused:UNUSED_PAD src0_sel:WORD_1 src1_sel:WORD_1
	v_sub_f16_e32 v15, v4, v7
	v_sub_f16_sdwa v4, v4, v7 dst_sel:DWORD dst_unused:UNUSED_PAD src0_sel:WORD_1 src1_sel:WORD_1
	v_fma_f16 v7, v15, v10, v11
	v_fma_f16 v16, v12, v10, v4
	v_fma_f16 v11, -v15, v10, v11
	v_fma_f16 v4, v12, v10, -v4
	s_waitcnt vmcnt(1)
	v_lshrrev_b32_e32 v10, 16, v14
	v_fma_f16 v7, -v13, v12, v7
	v_fmac_f16_e32 v16, v15, v13
	v_fmac_f16_e32 v11, v13, v12
	;; [unrolled: 1-line block ×3, first 2 shown]
	v_pack_b32_f16 v7, v7, v16
	v_add_nc_u32_e32 v16, 0x400, v0
	v_pack_b32_f16 v4, v11, v4
	ds_write_b32 v0, v7 offset:1428
	ds_write_b32 v9, v4 offset:4284
	ds_read_b32 v4, v0 offset:1904
	ds_read_b32 v7, v9 offset:3808
	s_waitcnt lgkmcnt(0)
	v_add_f16_e32 v11, v4, v7
	v_add_f16_sdwa v12, v7, v4 dst_sel:DWORD dst_unused:UNUSED_PAD src0_sel:WORD_1 src1_sel:WORD_1
	v_sub_f16_e32 v13, v4, v7
	v_sub_f16_sdwa v4, v4, v7 dst_sel:DWORD dst_unused:UNUSED_PAD src0_sel:WORD_1 src1_sel:WORD_1
	v_fma_f16 v7, v13, v10, v11
	v_fma_f16 v15, v12, v10, v4
	v_fma_f16 v11, -v13, v10, v11
	v_fma_f16 v4, v12, v10, -v4
	s_waitcnt vmcnt(0)
	v_lshrrev_b32_e32 v10, 16, v8
	v_fma_f16 v7, -v14, v12, v7
	v_fmac_f16_e32 v15, v13, v14
	v_fmac_f16_e32 v11, v14, v12
	;; [unrolled: 1-line block ×3, first 2 shown]
	v_pack_b32_f16 v7, v7, v15
	v_pack_b32_f16 v4, v11, v4
	ds_write_b32 v0, v7 offset:1904
	ds_write_b32 v9, v4 offset:3808
	ds_read_b32 v4, v0 offset:2380
	ds_read_b32 v7, v9 offset:3332
	s_waitcnt lgkmcnt(0)
	v_add_f16_e32 v11, v4, v7
	v_add_f16_sdwa v12, v7, v4 dst_sel:DWORD dst_unused:UNUSED_PAD src0_sel:WORD_1 src1_sel:WORD_1
	v_sub_f16_e32 v13, v4, v7
	v_sub_f16_sdwa v4, v4, v7 dst_sel:DWORD dst_unused:UNUSED_PAD src0_sel:WORD_1 src1_sel:WORD_1
	v_add_nc_u32_e32 v7, 0xe00, v0
	v_fma_f16 v14, v13, v10, v11
	v_fma_f16 v15, v12, v10, v4
	v_fma_f16 v11, -v13, v10, v11
	v_fma_f16 v4, v12, v10, -v4
	v_fma_f16 v10, -v8, v12, v14
	v_fmac_f16_e32 v15, v13, v8
	v_fmac_f16_e32 v11, v8, v12
	;; [unrolled: 1-line block ×3, first 2 shown]
	v_add_nc_u32_e32 v8, 0x1000, v0
	v_pack_b32_f16 v10, v10, v15
	v_pack_b32_f16 v4, v11, v4
	ds_write_b32 v0, v10 offset:2380
	ds_write_b32 v9, v4 offset:3332
	s_waitcnt lgkmcnt(0)
	s_barrier
	buffer_gl0_inv
	s_barrier
	buffer_gl0_inv
	ds_read2_b32 v[9:10], v0 offset1:84
	ds_read_b32 v29, v0 offset:5376
	ds_read2_b32 v[11:12], v8 offset0:152 offset1:236
	ds_read2_b32 v[17:18], v0 offset0:168 offset1:252
	ds_read2_b32 v[13:14], v7 offset0:112 offset1:196
	ds_read2_b32 v[23:24], v16 offset0:80 offset1:164
	v_add_nc_u32_e32 v4, 0x800, v0
	ds_read2_b32 v[21:22], v28 offset0:120 offset1:204
	ds_read2_b32 v[15:16], v27 offset0:72 offset1:156
	v_mov_b32_e32 v8, 0x35c8
	ds_read2_b32 v[19:20], v4 offset0:160 offset1:244
	s_waitcnt lgkmcnt(0)
	s_barrier
	buffer_gl0_inv
	v_pk_add_f16 v46, v29, v10
	v_pk_add_f16 v43, v10, v29 neg_lo:[0,1] neg_hi:[0,1]
	v_pk_add_f16 v44, v12, v17
	v_pk_add_f16 v41, v17, v12 neg_lo:[0,1] neg_hi:[0,1]
	v_pk_add_f16 v36, v23, v14 neg_lo:[0,1] neg_hi:[0,1]
	v_lshrrev_b32_e32 v56, 16, v46
	v_mul_f16_sdwa v80, v43, v47 dst_sel:DWORD dst_unused:UNUSED_PAD src0_sel:WORD_1 src1_sel:DWORD
	v_mul_f16_e32 v86, 0xbbf7, v43
	v_mul_f16_sdwa v96, v43, v48 dst_sel:DWORD dst_unused:UNUSED_PAD src0_sel:WORD_1 src1_sel:DWORD
	v_mul_f16_e32 v101, 0xbbb2, v43
	v_pk_add_f16 v42, v11, v18
	v_pk_add_f16 v39, v18, v11 neg_lo:[0,1] neg_hi:[0,1]
	v_mul_f16_sdwa v77, v41, v45 dst_sel:DWORD dst_unused:UNUSED_PAD src0_sel:WORD_1 src1_sel:DWORD
	v_lshrrev_b32_e32 v55, 16, v44
	v_mul_f16_e32 v85, 0xb1e1, v41
	v_mul_f16_sdwa v95, v41, v25 dst_sel:DWORD dst_unused:UNUSED_PAD src0_sel:WORD_1 src1_sel:DWORD
	v_mul_f16_e32 v100, 0x3836, v41
	v_mul_f16_sdwa v75, v36, v8 dst_sel:DWORD dst_unused:UNUSED_PAD src0_sel:WORD_1 src1_sel:DWORD
	v_fmamk_f16 v4, v46, 0x2de8, v80
	v_fma_f16 v8, v56, 0x2de8, -v86
	v_fmamk_f16 v25, v46, 0xb461, v96
	v_fma_f16 v26, v56, 0xb461, -v101
	v_pk_add_f16 v40, v14, v23
	v_mul_f16_sdwa v76, v39, v62 dst_sel:DWORD dst_unused:UNUSED_PAD src0_sel:WORD_1 src1_sel:DWORD
	v_lshrrev_b32_e32 v54, 16, v42
	v_mul_f16_e32 v84, 0x3bb2, v39
	v_mul_f16_sdwa v94, v39, v65 dst_sel:DWORD dst_unused:UNUSED_PAD src0_sel:WORD_1 src1_sel:DWORD
	v_mul_f16_e32 v99, 0x3964, v39
	v_fmamk_f16 v63, v44, 0xbbdd, v77
	v_fma_f16 v66, v55, 0xbbdd, -v85
	v_fmamk_f16 v67, v44, 0xbacd, v95
	v_fma_f16 v68, v55, 0xbacd, -v100
	v_add_f16_e32 v4, v9, v4
	v_add_f16_sdwa v8, v9, v8 dst_sel:DWORD dst_unused:UNUSED_PAD src0_sel:WORD_1 src1_sel:DWORD
	v_add_f16_sdwa v26, v9, v26 dst_sel:DWORD dst_unused:UNUSED_PAD src0_sel:WORD_1 src1_sel:DWORD
	v_add_f16_e32 v25, v9, v25
	v_pk_add_f16 v38, v13, v24
	v_pk_add_f16 v34, v24, v13 neg_lo:[0,1] neg_hi:[0,1]
	v_lshrrev_b32_e32 v53, 16, v40
	v_mul_f16_e32 v83, 0x35c8, v36
	v_mul_f16_sdwa v93, v36, v60 dst_sel:DWORD dst_unused:UNUSED_PAD src0_sel:WORD_1 src1_sel:DWORD
	v_mul_f16_e32 v69, 0xbb29, v36
	v_fmamk_f16 v87, v42, 0xb461, v76
	v_fma_f16 v102, v54, 0xb461, -v84
	v_fmamk_f16 v103, v42, 0x39e9, v94
	v_fma_f16 v104, v54, 0x39e9, -v99
	v_add_f16_e32 v4, v63, v4
	v_add_f16_e32 v8, v66, v8
	v_add_f16_e32 v26, v68, v26
	v_add_f16_e32 v25, v67, v25
	v_pk_add_f16 v32, v21, v16 neg_lo:[0,1] neg_hi:[0,1]
	v_pk_add_f16 v37, v16, v21
	v_mul_f16_sdwa v74, v34, v60 dst_sel:DWORD dst_unused:UNUSED_PAD src0_sel:WORD_1 src1_sel:DWORD
	v_lshrrev_b32_e32 v52, 16, v38
	v_mul_f16_e32 v81, 0xbb29, v34
	v_mul_f16_sdwa v91, v34, v45 dst_sel:DWORD dst_unused:UNUSED_PAD src0_sel:WORD_1 src1_sel:DWORD
	v_mul_f16_e32 v98, 0xb1e1, v34
	v_fmamk_f16 v105, v40, 0x3b76, v75
	v_fma_f16 v106, v53, 0x3b76, -v83
	v_fmamk_f16 v107, v40, 0x3722, v93
	v_fma_f16 v108, v53, 0x3722, -v69
	v_add_f16_e32 v4, v87, v4
	v_add_f16_e32 v8, v102, v8
	v_add_f16_e32 v26, v104, v26
	v_add_f16_e32 v25, v103, v25
	v_pk_add_f16 v31, v22, v15 neg_lo:[0,1] neg_hi:[0,1]
	v_pk_add_f16 v35, v15, v22
	v_mul_f16_sdwa v72, v32, v57 dst_sel:DWORD dst_unused:UNUSED_PAD src0_sel:WORD_1 src1_sel:DWORD
	;; [unrolled: 15-line block ×3, first 2 shown]
	v_lshrrev_b32_e32 v49, 16, v35
	v_mul_f16_e32 v78, 0x3a62, v31
	v_mul_f16_sdwa v88, v31, v64 dst_sel:DWORD dst_unused:UNUSED_PAD src0_sel:WORD_1 src1_sel:DWORD
	v_mul_f16_e32 v92, 0xb5c8, v31
	v_fmamk_f16 v113, v37, 0xbacd, v72
	v_fma_f16 v114, v51, 0xbacd, -v79
	v_fmamk_f16 v115, v37, 0x2de8, v89
	v_fma_f16 v116, v51, 0x2de8, -v97
	v_add_f16_e32 v4, v109, v4
	v_add_f16_e32 v8, v110, v8
	;; [unrolled: 1-line block ×4, first 2 shown]
	v_mul_f16_sdwa v70, v30, v65 dst_sel:DWORD dst_unused:UNUSED_PAD src0_sel:WORD_1 src1_sel:DWORD
	v_lshrrev_b32_e32 v50, 16, v33
	v_mul_f16_e32 v73, 0x3964, v30
	v_mul_f16_e32 v90, 0xba62, v30
	v_mul_f16_sdwa v82, v30, v61 dst_sel:DWORD dst_unused:UNUSED_PAD src0_sel:WORD_1 src1_sel:DWORD
	v_fmamk_f16 v117, v35, 0xb8d2, v71
	v_fma_f16 v118, v49, 0xb8d2, -v78
	v_fmamk_f16 v119, v35, 0x3b76, v88
	v_fma_f16 v63, v49, 0x3b76, -v92
	v_add_f16_e32 v4, v113, v4
	v_add_f16_e32 v8, v114, v8
	;; [unrolled: 1-line block ×4, first 2 shown]
	v_fmamk_f16 v66, v33, 0x39e9, v70
	v_fma_f16 v67, v50, 0x39e9, -v73
	v_fma_f16 v68, v50, 0xb8d2, -v90
	v_fmamk_f16 v87, v33, 0xb8d2, v82
	v_add_f16_e32 v4, v117, v4
	v_add_f16_e32 v8, v118, v8
	;; [unrolled: 1-line block ×8, first 2 shown]
	v_cmpx_gt_u32_e32 0x54, v3
	s_cbranch_execz .LBB0_21
; %bb.20:
	v_mul_f16_e32 v66, 0xb8d2, v56
	v_mul_f16_e32 v67, 0xb461, v55
	v_mul_f16_sdwa v103, v43, v61 dst_sel:DWORD dst_unused:UNUSED_PAD src0_sel:WORD_1 src1_sel:DWORD
	v_mul_f16_e32 v68, 0x3b76, v54
	v_mul_f16_sdwa v105, v41, v62 dst_sel:DWORD dst_unused:UNUSED_PAD src0_sel:WORD_1 src1_sel:DWORD
	v_fmamk_f16 v63, v43, 0x3a62, v66
	v_fmamk_f16 v87, v41, 0xbbb2, v67
	;; [unrolled: 1-line block ×3, first 2 shown]
	v_mul_f16_e32 v102, 0xbacd, v53
	v_mul_f16_sdwa v107, v39, v64 dst_sel:DWORD dst_unused:UNUSED_PAD src0_sel:WORD_1 src1_sel:DWORD
	v_add_f16_sdwa v63, v9, v63 dst_sel:DWORD dst_unused:UNUSED_PAD src0_sel:WORD_1 src1_sel:DWORD
	v_fmamk_f16 v108, v39, 0x35c8, v68
	v_fmamk_f16 v109, v44, 0xb461, v105
	v_add_f16_e32 v106, v9, v106
	v_mul_f16_e32 v104, 0x2de8, v52
	v_add_f16_e32 v63, v87, v63
	v_mul_f16_sdwa v110, v36, v57 dst_sel:DWORD dst_unused:UNUSED_PAD src0_sel:WORD_1 src1_sel:DWORD
	v_fmamk_f16 v111, v36, 0x3836, v102
	v_fmamk_f16 v87, v42, 0x3b76, v107
	v_add_f16_e32 v106, v109, v106
	v_add_f16_e32 v63, v108, v63
	v_mul_f16_sdwa v108, v34, v58 dst_sel:DWORD dst_unused:UNUSED_PAD src0_sel:WORD_1 src1_sel:DWORD
	v_fmamk_f16 v58, v34, 0xbbf7, v104
	v_fmamk_f16 v109, v40, 0xbacd, v110
	v_add_f16_e32 v106, v87, v106
	v_mov_b32_e32 v87, 0xb964
	v_add_f16_e32 v63, v111, v63
	v_mul_f16_e32 v111, 0x39e9, v51
	v_fmamk_f16 v112, v38, 0x2de8, v108
	v_add_f16_e32 v106, v109, v106
	v_mul_f16_sdwa v109, v32, v87 dst_sel:DWORD dst_unused:UNUSED_PAD src0_sel:WORD_1 src1_sel:DWORD
	v_add_f16_e32 v58, v58, v63
	v_mul_f16_e32 v63, 0xbacd, v56
	v_fmamk_f16 v113, v32, 0x3964, v111
	v_add_f16_e32 v106, v112, v106
	v_fmamk_f16 v112, v37, 0x39e9, v109
	v_mul_f16_e32 v114, 0xbbdd, v49
	v_fmamk_f16 v115, v43, 0x3836, v63
	v_mul_f16_e32 v116, 0x3722, v55
	v_add_f16_e32 v58, v113, v58
	v_add_f16_e32 v106, v112, v106
	v_fmamk_f16 v112, v31, 0x31e1, v114
	v_add_f16_sdwa v113, v9, v115 dst_sel:DWORD dst_unused:UNUSED_PAD src0_sel:WORD_1 src1_sel:DWORD
	v_fmamk_f16 v115, v41, 0xbb29, v116
	v_mul_f16_e32 v117, 0x2de8, v54
	v_mul_f16_sdwa v118, v31, v45 dst_sel:DWORD dst_unused:UNUSED_PAD src0_sel:WORD_1 src1_sel:DWORD
	v_mul_f16_e32 v119, 0x3722, v50
	v_mul_f16_e32 v121, 0xb8d2, v53
	v_add_f16_e32 v113, v115, v113
	v_fmamk_f16 v115, v39, 0x3bf7, v117
	v_add_f16_e32 v58, v112, v58
	v_fmamk_f16 v112, v35, 0xbbdd, v118
	v_mov_b32_e32 v120, 0x3b29
	v_fmamk_f16 v122, v30, 0xbb29, v119
	v_add_f16_e32 v113, v115, v113
	v_fmamk_f16 v115, v36, 0xba62, v121
	v_mul_f16_e32 v123, 0x3b76, v52
	v_add_f16_e32 v106, v112, v106
	v_mul_f16_sdwa v112, v43, v57 dst_sel:DWORD dst_unused:UNUSED_PAD src0_sel:WORD_1 src1_sel:DWORD
	v_mul_f16_sdwa v124, v30, v120 dst_sel:DWORD dst_unused:UNUSED_PAD src0_sel:WORD_1 src1_sel:DWORD
	v_add_f16_e32 v113, v115, v113
	v_fmamk_f16 v115, v34, 0x35c8, v123
	v_mul_f16_e32 v125, 0xbbdd, v51
	v_add_f16_e32 v58, v122, v58
	v_fmamk_f16 v122, v46, 0xbacd, v112
	v_mul_f16_sdwa v120, v41, v120 dst_sel:DWORD dst_unused:UNUSED_PAD src0_sel:WORD_1 src1_sel:DWORD
	v_add_f16_e32 v113, v115, v113
	v_fmamk_f16 v115, v32, 0x31e1, v125
	v_mul_f16_e32 v126, 0x39e9, v49
	v_add_f16_e32 v122, v9, v122
	v_fmamk_f16 v127, v44, 0x3722, v120
	v_mul_f16_sdwa v128, v39, v47 dst_sel:DWORD dst_unused:UNUSED_PAD src0_sel:WORD_1 src1_sel:DWORD
	v_fmamk_f16 v129, v33, 0x3722, v124
	v_add_f16_e32 v113, v115, v113
	v_fmamk_f16 v115, v31, 0xb964, v126
	v_add_f16_e32 v122, v127, v122
	v_fmamk_f16 v127, v42, 0x2de8, v128
	v_mul_f16_sdwa v130, v36, v59 dst_sel:DWORD dst_unused:UNUSED_PAD src0_sel:WORD_1 src1_sel:DWORD
	v_add_f16_e32 v59, v129, v106
	v_add_f16_e32 v106, v115, v113
	v_fmac_f16_e32 v63, 0xb836, v43
	v_add_f16_e32 v113, v127, v122
	v_mul_f16_e32 v127, 0xb461, v50
	v_fmac_f16_e32 v116, 0x3b29, v41
	v_fmac_f16_e32 v117, 0xbbf7, v39
	v_add_f16_sdwa v63, v9, v63 dst_sel:DWORD dst_unused:UNUSED_PAD src0_sel:WORD_1 src1_sel:DWORD
	v_fmamk_f16 v115, v40, 0xb8d2, v130
	v_fmamk_f16 v131, v30, 0x3bb2, v127
	v_mul_f16_sdwa v122, v34, v64 dst_sel:DWORD dst_unused:UNUSED_PAD src0_sel:WORD_1 src1_sel:DWORD
	v_fmac_f16_e32 v121, 0x3a62, v36
	v_add_f16_e32 v116, v116, v63
	v_add_f16_e32 v113, v115, v113
	v_add_f16_e32 v63, v131, v106
	v_fma_f16 v106, v46, 0xbacd, -v112
	v_fmamk_f16 v115, v38, 0x3b76, v122
	v_add_f16_e32 v112, v117, v116
	v_fma_f16 v116, v44, 0x3722, -v120
	v_mul_f16_sdwa v129, v32, v45 dst_sel:DWORD dst_unused:UNUSED_PAD src0_sel:WORD_1 src1_sel:DWORD
	v_add_f16_e32 v106, v9, v106
	v_fmac_f16_e32 v123, 0xb5c8, v34
	v_add_f16_e32 v112, v121, v112
	v_fmac_f16_e32 v66, 0xba62, v43
	v_add_f16_e32 v113, v115, v113
	v_add_f16_e32 v106, v116, v106
	v_fma_f16 v116, v42, 0x2de8, -v128
	v_fmamk_f16 v115, v37, 0xbbdd, v129
	v_add_f16_e32 v112, v123, v112
	v_add_f16_sdwa v66, v9, v66 dst_sel:DWORD dst_unused:UNUSED_PAD src0_sel:WORD_1 src1_sel:DWORD
	v_fmac_f16_e32 v67, 0x3bb2, v41
	v_fmac_f16_e32 v125, 0xb1e1, v32
	v_add_f16_e32 v106, v116, v106
	v_fma_f16 v116, v40, 0xb8d2, -v130
	v_add_f16_e32 v113, v115, v113
	v_mul_f16_sdwa v115, v31, v65 dst_sel:DWORD dst_unused:UNUSED_PAD src0_sel:WORD_1 src1_sel:DWORD
	v_add_f16_e32 v66, v67, v66
	v_fmac_f16_e32 v68, 0xb5c8, v39
	v_add_f16_e32 v67, v125, v112
	v_add_f16_e32 v106, v116, v106
	v_fma_f16 v112, v38, 0x3b76, -v122
	v_fmamk_f16 v117, v35, 0x39e9, v115
	v_mul_f16_sdwa v116, v30, v48 dst_sel:DWORD dst_unused:UNUSED_PAD src0_sel:WORD_1 src1_sel:DWORD
	v_add_f16_e32 v66, v68, v66
	v_fmac_f16_e32 v102, 0xb836, v36
	v_add_f16_e32 v68, v112, v106
	v_fma_f16 v112, v37, 0xbbdd, -v129
	v_add_f16_e32 v113, v117, v113
	v_fmamk_f16 v106, v33, 0xb461, v116
	v_add_f16_e32 v102, v102, v66
	v_fmac_f16_e32 v104, 0x3bf7, v34
	v_add_f16_e32 v68, v112, v68
	v_fma_f16 v112, v35, 0x39e9, -v115
	v_fma_f16 v103, v46, 0xb8d2, -v103
	v_add_f16_e32 v66, v106, v113
	v_add_f16_e32 v102, v104, v102
	v_fma_f16 v104, v33, 0xb461, -v116
	v_add_f16_e32 v68, v112, v68
	v_mul_f16_e32 v106, 0xb461, v56
	v_add_f16_e32 v103, v9, v103
	v_fma_f16 v105, v44, 0xb461, -v105
	v_fma_f16 v108, v38, 0x2de8, -v108
	v_add_f16_e32 v68, v104, v68
	v_add_f16_e32 v101, v101, v106
	v_mul_f16_e32 v104, 0xbacd, v55
	v_add_f16_e32 v103, v105, v103
	v_fma_f16 v105, v42, 0x3b76, -v107
	v_fma_f16 v107, v40, 0xbacd, -v110
	v_add_f16_sdwa v101, v9, v101 dst_sel:DWORD dst_unused:UNUSED_PAD src0_sel:WORD_1 src1_sel:DWORD
	v_add_f16_e32 v100, v100, v104
	v_mul_f16_e32 v104, 0x39e9, v54
	v_add_f16_e32 v103, v105, v103
	v_mul_f16_e32 v110, 0xbacd, v44
	v_mul_f16_e32 v105, 0x2de8, v56
	v_add_f16_e32 v100, v100, v101
	v_mul_f16_e32 v101, 0xb461, v46
	v_add_f16_e32 v99, v99, v104
	v_add_f16_e32 v103, v107, v103
	v_mul_f16_e32 v107, 0x3722, v53
	v_fma_f16 v109, v37, 0x39e9, -v109
	v_sub_f16_e32 v96, v101, v96
	v_add_f16_e32 v99, v99, v100
	v_add_f16_e32 v103, v108, v103
	;; [unrolled: 1-line block ×3, first 2 shown]
	v_mul_f16_e32 v108, 0xbbdd, v52
	v_mul_f16_e32 v101, 0x39e9, v42
	v_sub_f16_e32 v95, v110, v95
	v_add_f16_e32 v96, v9, v96
	v_add_f16_e32 v99, v107, v99
	;; [unrolled: 1-line block ×3, first 2 shown]
	v_fmac_f16_e32 v111, 0xb964, v32
	v_mul_f16_e32 v100, 0xbbdd, v55
	v_add_f16_e32 v103, v109, v103
	v_mul_f16_e32 v109, 0x3722, v40
	v_add_f16_e32 v98, v98, v99
	;; [unrolled: 2-line block ×3, first 2 shown]
	v_sub_f16_e32 v94, v101, v94
	v_add_f16_e32 v86, v86, v105
	v_add_f16_e32 v102, v111, v102
	v_mul_f16_e32 v107, 0xb461, v54
	v_add_f16_e32 v97, v97, v99
	v_mul_f16_e32 v99, 0xbbdd, v38
	v_fma_f16 v111, v35, 0xbbdd, -v118
	v_add_f16_e32 v94, v94, v95
	v_sub_f16_e32 v93, v109, v93
	v_add_f16_sdwa v86, v9, v86 dst_sel:DWORD dst_unused:UNUSED_PAD src0_sel:WORD_1 src1_sel:DWORD
	v_add_f16_e32 v85, v85, v100
	v_mul_f16_e32 v110, 0x3b76, v53
	v_add_f16_e32 v103, v111, v103
	v_mul_f16_e32 v111, 0x2de8, v37
	v_add_f16_e32 v93, v93, v94
	v_mul_f16_e32 v94, 0x3b76, v49
	v_sub_f16_e32 v91, v99, v91
	v_add_f16_e32 v85, v85, v86
	v_add_f16_e32 v84, v84, v107
	v_fmac_f16_e32 v114, 0xb1e1, v31
	v_mul_f16_e32 v106, 0x2de8, v46
	v_add_f16_e32 v97, v97, v98
	v_mul_f16_e32 v105, 0x3b76, v35
	v_add_f16_e32 v92, v92, v94
	v_add_f16_e32 v91, v91, v93
	v_sub_f16_e32 v89, v111, v89
	v_mul_f16_e32 v111, 0xb8d2, v50
	v_add_f16_e32 v84, v84, v85
	v_add_f16_e32 v85, v83, v110
	;; [unrolled: 1-line block ×3, first 2 shown]
	v_mul_f16_e32 v104, 0xbbdd, v44
	v_fmac_f16_e32 v119, 0x3b29, v30
	v_mul_f16_e32 v101, 0x3722, v52
	v_add_f16_e32 v86, v92, v97
	v_add_f16_e32 v90, v90, v111
	;; [unrolled: 1-line block ×3, first 2 shown]
	v_sub_f16_e32 v88, v105, v88
	v_sub_f16_e32 v80, v106, v80
	v_add_f16_e32 v84, v85, v84
	v_mul_f16_e32 v85, 0xbb29, v43
	v_add_f16_e32 v69, v119, v102
	v_mul_f16_e32 v102, 0xb461, v42
	v_add_f16_e32 v86, v90, v86
	v_add_f16_e32 v88, v88, v89
	;; [unrolled: 1-line block ×4, first 2 shown]
	v_sub_f16_e32 v77, v104, v77
	v_fmamk_f16 v89, v56, 0x3722, v85
	v_mul_f16_e32 v90, 0xba62, v41
	v_mul_f16_e32 v108, 0x3b76, v40
	v_add_f16_e32 v81, v81, v84
	v_add_f16_e32 v77, v77, v80
	v_sub_f16_e32 v76, v102, v76
	v_add_f16_sdwa v80, v9, v89 dst_sel:DWORD dst_unused:UNUSED_PAD src0_sel:WORD_1 src1_sel:DWORD
	v_fmamk_f16 v84, v55, 0xb8d2, v90
	v_mul_f16_e32 v89, 0x31e1, v39
	v_mul_f16_e32 v96, 0x3722, v38
	v_add_f16_e32 v76, v76, v77
	v_sub_f16_e32 v75, v108, v75
	v_add_f16_e32 v77, v84, v80
	v_fmamk_f16 v80, v54, 0xbbdd, v89
	v_mul_f16_e32 v84, 0x3bb2, v36
	v_mul_f16_e32 v95, 0xbacd, v37
	;; [unrolled: 1-line block ×3, first 2 shown]
	v_add_f16_e32 v75, v75, v76
	v_sub_f16_e32 v74, v96, v74
	v_add_f16_e32 v76, v80, v77
	v_fmamk_f16 v77, v53, 0xb461, v84
	v_mul_f16_e32 v80, 0x3964, v34
	v_mul_f16_e32 v98, 0xb8d2, v35
	;; [unrolled: 1-line block ×4, first 2 shown]
	v_add_f16_e32 v79, v79, v109
	v_add_f16_e32 v74, v74, v75
	v_sub_f16_e32 v72, v95, v72
	v_add_f16_e32 v75, v77, v76
	v_fmamk_f16 v76, v52, 0x39e9, v80
	v_mul_f16_e32 v77, 0xb5c8, v32
	v_mul_f16_e32 v94, 0x39e9, v33
	;; [unrolled: 1-line block ×3, first 2 shown]
	v_sub_f16_e32 v82, v100, v82
	v_add_f16_e32 v79, v79, v81
	v_add_f16_e32 v78, v78, v99
	;; [unrolled: 1-line block ×3, first 2 shown]
	v_sub_f16_e32 v71, v98, v71
	v_add_f16_e32 v74, v76, v75
	v_fmamk_f16 v75, v51, 0x3b76, v77
	v_mul_f16_e32 v76, 0xbbf7, v31
	v_add_f16_e32 v78, v78, v79
	v_add_f16_e32 v73, v73, v93
	;; [unrolled: 1-line block ×3, first 2 shown]
	v_sub_f16_e32 v70, v94, v70
	v_add_f16_e32 v72, v75, v74
	v_fmamk_f16 v74, v49, 0x2de8, v76
	v_mul_f16_sdwa v75, v43, v60 dst_sel:DWORD dst_unused:UNUSED_PAD src0_sel:WORD_1 src1_sel:DWORD
	v_add_f16_e32 v79, v82, v88
	v_mul_f16_e32 v82, 0xb964, v43
	v_add_f16_e32 v73, v73, v78
	v_add_f16_e32 v70, v70, v71
	;; [unrolled: 1-line block ×3, first 2 shown]
	v_fma_f16 v72, v46, 0x3722, -v75
	v_mul_f16_sdwa v74, v41, v61 dst_sel:DWORD dst_unused:UNUSED_PAD src0_sel:WORD_1 src1_sel:DWORD
	v_mov_b32_e32 v78, 0x31e1
	v_fmamk_f16 v92, v56, 0x39e9, v82
	v_mul_f16_e32 v93, 0xbbf7, v41
	v_add_f16_e32 v72, v9, v72
	v_fma_f16 v88, v44, 0xb8d2, -v74
	v_mul_f16_sdwa v78, v39, v78 dst_sel:DWORD dst_unused:UNUSED_PAD src0_sel:WORD_1 src1_sel:DWORD
	v_add_f16_sdwa v92, v9, v92 dst_sel:DWORD dst_unused:UNUSED_PAD src0_sel:WORD_1 src1_sel:DWORD
	v_fmamk_f16 v94, v55, 0x2de8, v93
	v_mul_f16_e32 v95, 0xba62, v39
	v_add_f16_e32 v72, v88, v72
	v_fma_f16 v88, v42, 0xbbdd, -v78
	v_mul_f16_sdwa v62, v36, v62 dst_sel:DWORD dst_unused:UNUSED_PAD src0_sel:WORD_1 src1_sel:DWORD
	v_add_f16_e32 v92, v94, v92
	v_fmamk_f16 v94, v54, 0xb8d2, v95
	v_mul_f16_e32 v96, 0xb1e1, v36
	v_fma_f16 v85, v56, 0x3722, -v85
	v_add_f16_e32 v72, v88, v72
	v_fma_f16 v88, v40, 0xb461, -v62
	v_mul_f16_sdwa v65, v34, v65 dst_sel:DWORD dst_unused:UNUSED_PAD src0_sel:WORD_1 src1_sel:DWORD
	v_add_f16_e32 v92, v94, v92
	v_fmamk_f16 v94, v53, 0xbbdd, v96
	v_mul_f16_e32 v98, 0x3836, v34
	v_pk_add_f16 v10, v9, v10
	v_add_f16_sdwa v85, v9, v85 dst_sel:DWORD dst_unused:UNUSED_PAD src0_sel:WORD_1 src1_sel:DWORD
	v_fma_f16 v90, v55, 0xb8d2, -v90
	v_add_f16_e32 v72, v88, v72
	v_fma_f16 v88, v38, 0x39e9, -v65
	v_mul_f16_sdwa v97, v32, v64 dst_sel:DWORD dst_unused:UNUSED_PAD src0_sel:WORD_1 src1_sel:DWORD
	v_add_f16_e32 v92, v94, v92
	v_fmamk_f16 v94, v52, 0xbacd, v98
	v_mul_f16_e32 v100, 0x3bb2, v32
	v_pk_add_f16 v10, v10, v17
	v_add_f16_e32 v17, v90, v85
	v_fma_f16 v85, v54, 0xbbdd, -v89
	v_fma_f16 v112, v33, 0x3722, -v124
	v_add_f16_e32 v72, v88, v72
	v_fma_f16 v88, v37, 0x3b76, -v97
	v_mul_f16_sdwa v99, v31, v47 dst_sel:DWORD dst_unused:UNUSED_PAD src0_sel:WORD_1 src1_sel:DWORD
	v_add_f16_e32 v92, v94, v92
	v_fmamk_f16 v94, v51, 0xb461, v100
	v_mul_f16_e32 v102, 0x3b29, v31
	v_mul_f16_sdwa v64, v43, v64 dst_sel:DWORD dst_unused:UNUSED_PAD src0_sel:WORD_1 src1_sel:DWORD
	v_pk_add_f16 v10, v10, v18
	v_add_f16_e32 v17, v85, v17
	v_fma_f16 v18, v53, 0xb461, -v84
	v_fmac_f16_e32 v75, 0x3722, v46
	v_add_f16_e32 v83, v112, v103
	v_add_f16_e32 v72, v88, v72
	v_fma_f16 v88, v35, 0x2de8, -v99
	v_add_f16_e32 v92, v94, v92
	v_fmamk_f16 v94, v49, 0x3722, v102
	v_mul_f16_e32 v103, 0x35c8, v30
	v_fma_f16 v104, v46, 0x3b76, -v64
	v_mul_f16_sdwa v87, v41, v87 dst_sel:DWORD dst_unused:UNUSED_PAD src0_sel:WORD_1 src1_sel:DWORD
	v_pk_add_f16 v10, v10, v23
	v_fma_f16 v23, v56, 0x39e9, -v82
	v_add_f16_e32 v17, v18, v17
	v_fma_f16 v18, v52, 0x39e9, -v80
	v_add_f16_e32 v56, v9, v75
	v_fmac_f16_e32 v74, 0xb8d2, v44
	v_add_f16_e32 v72, v88, v72
	v_mul_f16_sdwa v88, v30, v57 dst_sel:DWORD dst_unused:UNUSED_PAD src0_sel:WORD_1 src1_sel:DWORD
	v_add_f16_e32 v92, v94, v92
	v_fmamk_f16 v94, v50, 0x3b76, v103
	v_add_f16_e32 v104, v9, v104
	v_fma_f16 v106, v44, 0x39e9, -v87
	v_pk_add_f16 v10, v10, v24
	v_add_f16_e32 v17, v18, v17
	v_add_f16_e32 v18, v74, v56
	v_fmac_f16_e32 v78, 0xbbdd, v42
	v_fma_f16 v105, v33, 0xbacd, -v88
	v_add_f16_e32 v92, v94, v92
	v_add_f16_e32 v94, v106, v104
	v_pk_mul_f16 v104, 0x3b7639e9, v46
	v_add_f16_sdwa v23, v9, v23 dst_sel:DWORD dst_unused:UNUSED_PAD src0_sel:WORD_1 src1_sel:DWORD
	v_fma_f16 v55, v55, 0x2de8, -v93
	v_fma_f16 v24, v54, 0xb8d2, -v95
	v_fma_f16 v54, v51, 0x3b76, -v77
	v_add_f16_e32 v18, v78, v18
	v_fmac_f16_e32 v62, 0xb461, v40
	v_pk_add_f16 v10, v10, v21
	v_add_f16_e32 v72, v105, v72
	v_pk_mul_f16 v105, 0x39e92de8, v44
	v_add_f16_e32 v23, v55, v23
	v_pk_fma_f16 v55, 0xb964b5c8, v43, v104 op_sel:[0,0,1] op_sel_hi:[1,1,0]
	v_add_f16_e32 v18, v62, v18
	v_fmac_f16_e32 v65, 0x39e9, v38
	v_add_f16_e32 v17, v54, v17
	v_pk_fma_f16 v54, 0xb964b5c8, v43, v104 op_sel:[0,0,1] op_sel_hi:[1,1,0] neg_lo:[0,1,0] neg_hi:[0,1,0]
	v_pk_add_f16 v10, v10, v22
	v_mul_f16_e32 v91, 0xbacd, v50
	v_pk_mul_f16 v106, 0x3722b8d2, v42
	v_add_f16_e32 v23, v24, v23
	v_fma_f16 v24, v53, 0xbbdd, -v96
	v_pk_add_f16 v53, v9, v55 op_sel:[1,0] op_sel_hi:[0,1]
	v_pk_fma_f16 v56, 0xbbf7b964, v41, v105 op_sel:[0,0,1] op_sel_hi:[1,1,0]
	v_add_f16_e32 v18, v65, v18
	v_pk_fma_f16 v65, 0xbbf7b964, v41, v105 op_sel:[0,0,1] op_sel_hi:[1,1,0] neg_lo:[0,1,0] neg_hi:[0,1,0]
	v_add_f16_sdwa v78, v9, v54 dst_sel:DWORD dst_unused:UNUSED_PAD src0_sel:WORD_1 src1_sel:DWORD
	v_fmac_f16_e32 v64, 0x3b76, v46
	v_bfi_b32 v22, 0xffff, v55, v54
	v_pk_add_f16 v10, v10, v19
	v_fmamk_f16 v101, v30, 0xb836, v91
	v_mul_f16_sdwa v60, v39, v60 dst_sel:DWORD dst_unused:UNUSED_PAD src0_sel:WORD_1 src1_sel:DWORD
	v_pk_mul_f16 v107, 0x2de8bbdd, v40
	v_add_f16_e32 v23, v24, v23
	v_fma_f16 v24, v52, 0xbacd, -v98
	v_pk_add_f16 v52, v56, v53
	v_pk_fma_f16 v53, 0xba62bb29, v39, v106 op_sel:[0,0,1] op_sel_hi:[1,1,0]
	v_pk_fma_f16 v74, 0xba62bb29, v39, v106 op_sel:[0,0,1] op_sel_hi:[1,1,0] neg_lo:[0,1,0] neg_hi:[0,1,0]
	v_add_f16_e32 v54, v65, v78
	v_add_f16_e32 v55, v9, v64
	v_fmac_f16_e32 v87, 0x39e9, v44
	v_pk_add_f16 v19, v9, v22 op_sel:[1,0] op_sel_hi:[0,1]
	v_bfi_b32 v22, 0xffff, v56, v65
	v_pk_add_f16 v10, v10, v20
	v_add_f16_e32 v71, v101, v71
	v_fma_f16 v101, v42, 0x3722, -v60
	v_mul_f16_sdwa v47, v36, v47 dst_sel:DWORD dst_unused:UNUSED_PAD src0_sel:WORD_1 src1_sel:DWORD
	v_pk_mul_f16 v108, 0xb461bacd, v38
	v_add_f16_e32 v23, v24, v23
	v_fma_f16 v24, v51, 0xb461, -v100
	v_pk_add_f16 v51, v53, v52
	v_pk_fma_f16 v52, 0xb1e1bbf7, v36, v107 op_sel:[0,0,1] op_sel_hi:[1,1,0]
	v_pk_fma_f16 v75, 0xb1e1bbf7, v36, v107 op_sel:[0,0,1] op_sel_hi:[1,1,0] neg_lo:[0,1,0] neg_hi:[0,1,0]
	v_add_f16_e32 v54, v74, v54
	v_add_f16_e32 v55, v87, v55
	v_fmac_f16_e32 v60, 0x3722, v42
	v_pk_add_f16 v19, v22, v19
	v_bfi_b32 v20, 0xffff, v53, v74
	v_pk_add_f16 v10, v10, v15
	v_add_f16_e32 v94, v101, v94
	v_fma_f16 v101, v40, 0x2de8, -v47
	v_mul_f16_sdwa v48, v34, v48 dst_sel:DWORD dst_unused:UNUSED_PAD src0_sel:WORD_1 src1_sel:DWORD
	v_pk_mul_f16 v109, 0xb8d2b461, v37
	v_add_f16_e32 v23, v24, v23
	v_fma_f16 v24, v49, 0x3722, -v102
	v_pk_add_f16 v51, v52, v51
	v_pk_fma_f16 v62, 0x3836bbb2, v34, v108 op_sel:[0,0,1] op_sel_hi:[1,1,0]
	v_fma_f16 v49, v49, 0x2de8, -v76
	v_pk_fma_f16 v76, 0x3836bbb2, v34, v108 op_sel:[0,0,1] op_sel_hi:[1,1,0] neg_lo:[0,1,0] neg_hi:[0,1,0]
	v_add_f16_e32 v22, v75, v54
	v_add_f16_e32 v53, v60, v55
	v_fmac_f16_e32 v47, 0x2de8, v40
	v_pk_add_f16 v15, v20, v19
	v_bfi_b32 v19, 0xffff, v52, v75
	v_pk_add_f16 v10, v10, v16
	v_add_f16_e32 v94, v101, v94
	v_fma_f16 v101, v38, 0xb461, -v48
	v_mul_f16_sdwa v61, v32, v61 dst_sel:DWORD dst_unused:UNUSED_PAD src0_sel:WORD_1 src1_sel:DWORD
	v_pk_mul_f16 v110, 0xbacd3722, v35
	v_add_f16_e32 v23, v24, v23
	v_fma_f16 v24, v50, 0x3b76, -v103
	v_pk_add_f16 v50, v62, v51
	v_pk_fma_f16 v51, 0x3bb2ba62, v32, v109 op_sel:[0,0,1] op_sel_hi:[1,1,0]
	v_pk_fma_f16 v77, 0x3bb2ba62, v32, v109 op_sel:[0,0,1] op_sel_hi:[1,1,0] neg_lo:[0,1,0] neg_hi:[0,1,0]
	v_add_f16_e32 v20, v76, v22
	v_add_f16_e32 v22, v47, v53
	v_fmac_f16_e32 v48, 0xb461, v38
	v_pk_add_f16 v15, v19, v15
	v_bfi_b32 v16, 0xffff, v62, v76
	v_pk_add_f16 v10, v10, v13
	v_pk_mul_f16 v111, 0xbbdd3b76, v33
	v_add_f16_e32 v94, v101, v94
	v_fma_f16 v101, v37, 0xb8d2, -v61
	v_mul_f16_sdwa v57, v31, v57 dst_sel:DWORD dst_unused:UNUSED_PAD src0_sel:WORD_1 src1_sel:DWORD
	v_add_f16_e32 v23, v24, v23
	v_pk_add_f16 v24, v51, v50
	v_pk_fma_f16 v50, 0x3b29b836, v31, v110 op_sel:[0,0,1] op_sel_hi:[1,1,0]
	v_pk_fma_f16 v21, 0x3b29b836, v31, v110 op_sel:[0,0,1] op_sel_hi:[1,1,0] neg_lo:[0,1,0] neg_hi:[0,1,0]
	v_add_f16_e32 v19, v77, v20
	v_add_f16_e32 v20, v48, v22
	v_fmac_f16_e32 v61, 0xb8d2, v37
	v_pk_add_f16 v13, v16, v15
	v_bfi_b32 v15, 0xffff, v51, v77
	v_pk_add_f16 v10, v10, v14
	v_add_f16_e32 v94, v101, v94
	v_fma_f16 v101, v35, 0xbacd, -v57
	v_mul_f16_sdwa v45, v30, v45 dst_sel:DWORD dst_unused:UNUSED_PAD src0_sel:WORD_1 src1_sel:DWORD
	v_pk_fma_f16 v80, 0x35c8b1e1, v30, v111 op_sel:[0,0,1] op_sel_hi:[1,1,0] neg_lo:[0,1,0] neg_hi:[0,1,0]
	v_add_f16_e32 v16, v21, v19
	v_add_f16_e32 v19, v61, v20
	v_fmac_f16_e32 v57, 0xbacd, v35
	v_pk_add_f16 v13, v15, v13
	v_bfi_b32 v14, 0xffff, v50, v21
	v_pk_fma_f16 v15, 0x35c8b1e1, v30, v111 op_sel:[0,0,1] op_sel_hi:[1,1,0]
	v_pk_add_f16 v10, v10, v11
	v_add_f16_e32 v89, v101, v94
	v_fma_f16 v90, v33, 0xbbdd, -v45
	v_add_f16_e32 v19, v57, v19
	v_fmac_f16_e32 v45, 0xbbdd, v33
	v_pk_add_f16 v11, v14, v13
	v_bfi_b32 v13, 0xffff, v15, v80
	v_pk_add_f16 v10, v10, v12
	v_pk_mul_f16 v12, 0xbbdd, v46 op_sel_hi:[0,1]
	v_add_f16_e32 v84, v90, v89
	v_add_f16_e32 v14, v80, v16
	;; [unrolled: 1-line block ×3, first 2 shown]
	v_pk_add_f16 v11, v13, v11
	v_pk_fma_f16 v16, 0xb1e1, v43, v12 op_sel:[0,0,1] op_sel_hi:[0,1,0] neg_lo:[0,1,0] neg_hi:[0,1,0]
	v_pk_mul_f16 v19, 0x3b76, v44 op_sel_hi:[0,1]
	v_pk_fma_f16 v12, 0xb1e1, v43, v12 op_sel:[0,0,1] op_sel_hi:[0,1,0]
	v_lshl_add_u32 v13, v3, 6, v0
	v_alignbit_b32 v20, v92, v11, 16
	v_pack_b32_f16 v11, v84, v11
	v_pk_add_f16 v16, v9, v16 op_sel:[1,0] op_sel_hi:[0,1]
	v_pk_fma_f16 v21, 0x35c8, v41, v19 op_sel:[0,0,1] op_sel_hi:[0,1,0] neg_lo:[0,1,0] neg_hi:[0,1,0]
	v_pk_mul_f16 v22, 0xbacd, v42 op_sel_hi:[0,1]
	v_pk_add_f16 v9, v9, v12 op_sel:[1,0] op_sel_hi:[0,1]
	v_pk_fma_f16 v12, 0x35c8, v41, v19 op_sel:[0,0,1] op_sel_hi:[0,1,0]
	ds_write2_b32 v13, v11, v20 offset0:1 offset1:2
	v_pk_add_f16 v11, v21, v16
	v_pk_fma_f16 v16, 0xb836, v39, v22 op_sel:[0,0,1] op_sel_hi:[0,1,0] neg_lo:[0,1,0] neg_hi:[0,1,0]
	v_pk_mul_f16 v19, 0x39e9, v40 op_sel_hi:[0,1]
	v_pk_add_f16 v9, v12, v9
	v_pk_fma_f16 v12, 0xb836, v39, v22 op_sel:[0,0,1] op_sel_hi:[0,1,0]
	v_pk_mul_f16 v21, 0xb8d2, v38 op_sel_hi:[0,1]
	v_pk_add_f16 v11, v16, v11
	v_pk_fma_f16 v16, 0x3964, v36, v19 op_sel:[0,0,1] op_sel_hi:[0,1,0] neg_lo:[0,1,0] neg_hi:[0,1,0]
	v_pack_b32_f16 v20, v70, v73
	v_pk_add_f16 v9, v12, v9
	v_pk_fma_f16 v12, 0x3964, v36, v19 op_sel:[0,0,1] op_sel_hi:[0,1,0]
	v_pack_b32_f16 v19, v72, v71
	v_pk_add_f16 v11, v16, v11
	v_pk_fma_f16 v16, 0xba62, v34, v21 op_sel:[0,0,1] op_sel_hi:[0,1,0] neg_lo:[0,1,0] neg_hi:[0,1,0]
	v_pk_mul_f16 v22, 0x3722, v37 op_sel_hi:[0,1]
	v_pk_add_f16 v9, v12, v9
	v_pk_fma_f16 v12, 0xba62, v34, v21 op_sel:[0,0,1] op_sel_hi:[0,1,0]
	v_mul_f16_e32 v81, 0xb836, v30
	ds_write2_b32 v13, v19, v20 offset0:3 offset1:4
	v_pk_add_f16 v11, v16, v11
	v_pk_fma_f16 v16, 0x3b29, v32, v22 op_sel:[0,0,1] op_sel_hi:[0,1,0] neg_lo:[0,1,0] neg_hi:[0,1,0]
	v_pk_mul_f16 v19, 0xb461, v35 op_sel_hi:[0,1]
	v_pk_add_f16 v9, v12, v9
	v_pk_fma_f16 v12, 0x3b29, v32, v22 op_sel:[0,0,1] op_sel_hi:[0,1,0]
	v_fmac_f16_e32 v126, 0x3964, v31
	v_pk_mul_f16 v94, 0x35c8b1e1, v30
	v_fmac_f16_e32 v97, 0x3b76, v37
	v_pk_add_f16 v11, v16, v11
	v_pk_fma_f16 v16, 0xbbb2, v31, v19 op_sel:[0,0,1] op_sel_hi:[0,1,0] neg_lo:[0,1,0] neg_hi:[0,1,0]
	v_pk_mul_f16 v21, 0x2de8, v33 op_sel_hi:[0,1]
	v_pk_add_f16 v9, v12, v9
	v_pk_fma_f16 v12, 0xbbb2, v31, v19 op_sel:[0,0,1] op_sel_hi:[0,1,0]
	v_bfi_b32 v22, 0xffff, v81, v24
	v_add_f16_e32 v67, v126, v67
	v_fmac_f16_e32 v127, 0xbbb2, v30
	v_add_f16_e32 v18, v97, v18
	v_fmac_f16_e32 v99, 0x2de8, v35
	v_pk_add_f16 v11, v16, v11
	v_pk_fma_f16 v16, 0x3bf7, v30, v21 op_sel:[0,0,1] op_sel_hi:[0,1,0] neg_lo:[0,1,0] neg_hi:[0,1,0]
	v_pk_add_f16 v9, v12, v9
	v_pk_fma_f16 v12, 0x3bf7, v30, v21 op_sel:[0,0,1] op_sel_hi:[0,1,0]
	v_pk_add_f16 v21, v91, v22 neg_lo:[0,1] neg_hi:[0,1]
	v_pk_add_f16 v22, v50, v24
	v_pack_b32_f16 v24, v49, v111
	v_bfi_b32 v17, 0xffff, v17, v94
	v_add_f16_e32 v67, v127, v67
	v_add_f16_e32 v18, v99, v18
	v_fmac_f16_e32 v88, 0xbacd, v33
	v_pack_b32_f16 v20, v79, v86
	v_pack_b32_f16 v19, v83, v69
	v_pk_add_f16 v11, v16, v11
	v_pk_add_f16 v9, v12, v9
	v_bfi_b32 v12, 0xffff, v21, v22
	v_pk_add_f16 v16, v24, v17
	v_pk_add_f16 v10, v10, v29
	v_pack_b32_f16 v29, v68, v67
	v_add_f16_e32 v18, v88, v18
	ds_write2_b32 v13, v20, v19 offset0:5 offset1:6
	ds_write2_b32 v13, v10, v29 offset1:7
	v_alignbit_b32 v10, v11, v9, 16
	v_alignbit_b32 v9, v9, v11, 16
	v_pk_add_f16 v11, v12, v16
	v_pack_b32_f16 v12, v59, v58
	v_pack_b32_f16 v16, v66, v63
	v_perm_b32 v17, v25, v4, 0x5040100
	v_perm_b32 v19, v26, v8, 0x5040100
	v_alignbit_b32 v20, v23, v11, 16
	v_pack_b32_f16 v11, v18, v11
	v_pack_b32_f16 v14, v15, v14
	ds_write2_b32 v13, v9, v10 offset0:8 offset1:9
	ds_write2_b32 v13, v16, v12 offset0:10 offset1:11
	;; [unrolled: 1-line block ×4, first 2 shown]
	ds_write_b32 v13, v14 offset:64
.LBB0_21:
	s_or_b32 exec_lo, exec_lo, s1
	v_and_b32_e32 v9, 0xff, v3
	v_add_nc_u32_e32 v13, 0x253, v3
	v_add_nc_u16 v19, v3, 0x77
	v_add_nc_u32_e32 v10, 0xee, v3
	v_add_nc_u32_e32 v12, 0x1dc, v3
	v_mul_lo_u16 v30, 0xf1, v9
	v_mov_b32_e32 v9, 0xf0f1
	v_add_nc_u32_e32 v11, 0x165, v3
	v_and_b32_e32 v14, 0xff, v19
	v_mov_b32_e32 v29, 2
	v_lshrrev_b16 v23, 12, v30
	v_mul_u32_u24_sdwa v15, v13, v9 dst_sel:DWORD dst_unused:UNUSED_PAD src0_sel:WORD_0 src1_sel:DWORD
	v_mul_u32_u24_sdwa v16, v10, v9 dst_sel:DWORD dst_unused:UNUSED_PAD src0_sel:WORD_0 src1_sel:DWORD
	v_mul_u32_u24_sdwa v18, v12, v9 dst_sel:DWORD dst_unused:UNUSED_PAD src0_sel:WORD_0 src1_sel:DWORD
	v_mul_u32_u24_sdwa v9, v11, v9 dst_sel:DWORD dst_unused:UNUSED_PAD src0_sel:WORD_0 src1_sel:DWORD
	v_mul_lo_u16 v20, 0xf1, v14
	v_lshrrev_b32_e32 v24, 20, v15
	v_lshrrev_b32_e32 v31, 20, v16
	;; [unrolled: 1-line block ×4, first 2 shown]
	v_lshrrev_b16 v34, 12, v20
	v_mul_lo_u16 v9, v24, 17
	v_mul_lo_u16 v14, v31, 17
	;; [unrolled: 1-line block ×5, first 2 shown]
	v_sub_nc_u16 v9, v13, v9
	v_mul_lo_u16 v13, v34, 17
	v_sub_nc_u16 v10, v10, v14
	v_sub_nc_u16 v12, v12, v15
	;; [unrolled: 1-line block ×3, first 2 shown]
	v_lshlrev_b32_sdwa v35, v29, v9 dst_sel:DWORD dst_unused:UNUSED_PAD src0_sel:DWORD src1_sel:WORD_0
	v_sub_nc_u16 v9, v19, v13
	v_lshlrev_b32_sdwa v38, v29, v10 dst_sel:DWORD dst_unused:UNUSED_PAD src0_sel:DWORD src1_sel:WORD_0
	v_sub_nc_u16 v10, v3, v17
	v_lshlrev_b32_sdwa v36, v29, v12 dst_sel:DWORD dst_unused:UNUSED_PAD src0_sel:DWORD src1_sel:WORD_0
	v_lshlrev_b32_sdwa v37, v29, v11 dst_sel:DWORD dst_unused:UNUSED_PAD src0_sel:DWORD src1_sel:WORD_0
	s_waitcnt lgkmcnt(0)
	s_barrier
	buffer_gl0_inv
	global_load_dword v39, v35, s[12:13]
	v_lshlrev_b32_sdwa v43, v29, v9 dst_sel:DWORD dst_unused:UNUSED_PAD src0_sel:DWORD src1_sel:BYTE_0
	v_lshlrev_b32_sdwa v44, v29, v10 dst_sel:DWORD dst_unused:UNUSED_PAD src0_sel:DWORD src1_sel:BYTE_0
	s_clause 0x4
	global_load_dword v40, v36, s[12:13]
	global_load_dword v41, v37, s[12:13]
	global_load_dword v42, v38, s[12:13]
	global_load_dword v45, v43, s[12:13]
	global_load_dword v46, v44, s[12:13]
	v_add_nc_u32_e32 v9, 0x1200, v0
	v_add_nc_u32_e32 v17, 0xa00, v0
	;; [unrolled: 1-line block ×3, first 2 shown]
	ds_read2_b32 v[13:14], v0 offset1:119
	v_mov_b32_e32 v47, 0x88
	ds_read2_b32 v[9:10], v9 offset0:38 offset1:157
	ds_read2_b32 v[11:12], v7 offset0:56 offset1:175
	;; [unrolled: 1-line block ×5, first 2 shown]
	v_mul_u32_u24_e32 v24, 0x88, v24
	v_mul_u32_u24_e32 v32, 0x88, v32
	v_mul_u32_u24_sdwa v7, v23, v47 dst_sel:DWORD dst_unused:UNUSED_PAD src0_sel:WORD_0 src1_sel:DWORD
	v_mul_u32_u24_e32 v23, 0x88, v31
	v_mul_u32_u24_e32 v31, 0x88, v33
	v_mul_u32_u24_sdwa v33, v34, v47 dst_sel:DWORD dst_unused:UNUSED_PAD src0_sel:WORD_0 src1_sel:DWORD
	v_add3_u32 v24, 0, v24, v35
	v_add3_u32 v34, 0, v7, v44
	v_add3_u32 v23, 0, v23, v38
	v_add3_u32 v32, 0, v32, v36
	v_add3_u32 v31, 0, v31, v37
	v_add3_u32 v33, 0, v33, v43
	s_waitcnt vmcnt(0) lgkmcnt(0)
	s_barrier
	buffer_gl0_inv
	v_cmp_gt_u32_e64 s0, 0x55, v3
	v_pk_mul_f16 v7, v10, v39 op_sel:[0,1]
	v_pk_mul_f16 v35, v40, v9 op_sel:[0,1]
	;; [unrolled: 1-line block ×4, first 2 shown]
	v_pk_fma_f16 v38, v10, v39, v7 op_sel:[0,0,1] op_sel_hi:[1,1,0] neg_lo:[0,0,1] neg_hi:[0,0,1]
	v_pk_fma_f16 v7, v10, v39, v7 op_sel:[0,0,1] op_sel_hi:[1,0,0]
	v_pk_fma_f16 v10, v40, v9, v35 op_sel:[0,0,1] op_sel_hi:[1,1,0] neg_lo:[0,0,1] neg_hi:[0,0,1]
	v_pk_fma_f16 v9, v40, v9, v35 op_sel:[0,0,1] op_sel_hi:[1,0,0]
	v_pk_mul_f16 v40, v46, v17 op_sel:[0,1]
	v_pk_mul_f16 v39, v45, v18 op_sel:[0,1]
	v_pk_fma_f16 v35, v41, v12, v36 op_sel:[0,0,1] op_sel_hi:[1,1,0] neg_lo:[0,0,1] neg_hi:[0,0,1]
	v_pk_fma_f16 v12, v41, v12, v36 op_sel:[0,0,1] op_sel_hi:[1,0,0]
	v_pk_fma_f16 v36, v42, v11, v37 op_sel:[0,0,1] op_sel_hi:[1,1,0] neg_lo:[0,0,1] neg_hi:[0,0,1]
	v_pk_fma_f16 v41, v46, v17, v40 op_sel:[0,0,1] op_sel_hi:[1,1,0] neg_lo:[0,0,1] neg_hi:[0,0,1]
	v_pk_fma_f16 v17, v46, v17, v40 op_sel:[0,0,1] op_sel_hi:[1,0,0]
	v_pk_fma_f16 v11, v42, v11, v37 op_sel:[0,0,1] op_sel_hi:[1,0,0]
	v_pk_fma_f16 v37, v45, v18, v39 op_sel:[0,0,1] op_sel_hi:[1,1,0] neg_lo:[0,0,1] neg_hi:[0,0,1]
	v_pk_fma_f16 v18, v45, v18, v39 op_sel:[0,0,1] op_sel_hi:[1,0,0]
	v_bfi_b32 v9, 0xffff, v10, v9
	v_bfi_b32 v10, 0xffff, v35, v12
	;; [unrolled: 1-line block ×6, first 2 shown]
	v_pk_add_f16 v11, v15, v9 neg_lo:[0,1] neg_hi:[0,1]
	v_pk_add_f16 v35, v13, v12 neg_lo:[0,1] neg_hi:[0,1]
	;; [unrolled: 1-line block ×6, first 2 shown]
	v_pk_fma_f16 v13, v13, 2.0, v35 op_sel_hi:[1,0,1] neg_lo:[0,0,1] neg_hi:[0,0,1]
	v_pk_fma_f16 v12, v16, 2.0, v7 op_sel_hi:[1,0,1] neg_lo:[0,0,1] neg_hi:[0,0,1]
	;; [unrolled: 1-line block ×6, first 2 shown]
	ds_write2_b32 v34, v13, v35 offset1:17
	ds_write2_b32 v33, v14, v17 offset1:17
	;; [unrolled: 1-line block ×6, first 2 shown]
	s_waitcnt lgkmcnt(0)
	s_barrier
	buffer_gl0_inv
	ds_read2_b32 v[13:14], v0 offset1:204
	ds_read2_b32 v[17:18], v28 offset0:24 offset1:228
	ds_read2_b32 v[15:16], v27 offset0:48 offset1:252
	ds_read_b32 v31, v0 offset:4896
	v_lshrrev_b32_e32 v23, 16, v12
	v_lshrrev_b32_e32 v24, 16, v7
	;; [unrolled: 1-line block ×5, first 2 shown]
	s_and_saveexec_b32 s1, s0
	s_cbranch_execz .LBB0_23
; %bb.22:
	v_add_nc_u32_e32 v7, 0x180, v0
	v_add_nc_u32_e32 v8, 0x800, v0
	v_add_nc_u32_e32 v21, 0xe00, v0
	ds_read_b32 v4, v0 offset:5372
	ds_read2_b32 v[9:10], v7 offset0:23 offset1:227
	ds_read2_b32 v[11:12], v8 offset0:15 offset1:219
	ds_read2_b32 v[7:8], v21 offset0:39 offset1:243
	ds_read_u16 v22, v0 offset:2110
	s_waitcnt lgkmcnt(4)
	v_lshrrev_b32_e32 v25, 16, v4
	s_waitcnt lgkmcnt(3)
	v_lshrrev_b32_e32 v21, 16, v9
	;; [unrolled: 2-line block ×4, first 2 shown]
	v_lshrrev_b32_e32 v26, 16, v8
	v_lshrrev_b32_e32 v27, 16, v10
.LBB0_23:
	s_or_b32 exec_lo, exec_lo, s1
	v_lshrrev_b16 v38, 13, v30
	v_mov_b32_e32 v28, 6
	s_waitcnt lgkmcnt(3)
	v_lshrrev_b32_e32 v40, 16, v14
	s_waitcnt lgkmcnt(2)
	v_lshrrev_b32_e32 v41, 16, v17
	;; [unrolled: 2-line block ×3, first 2 shown]
	v_mul_lo_u16 v30, v38, 34
	s_waitcnt lgkmcnt(0)
	v_lshrrev_b32_e32 v44, 16, v31
	v_lshrrev_b32_e32 v42, 16, v15
	v_sub_nc_u16 v39, v3, v30
	v_mul_u32_u24_sdwa v30, v39, v28 dst_sel:DWORD dst_unused:UNUSED_PAD src0_sel:BYTE_0 src1_sel:DWORD
	v_lshlrev_b32_sdwa v29, v29, v39 dst_sel:DWORD dst_unused:UNUSED_PAD src0_sel:DWORD src1_sel:BYTE_0
	v_lshrrev_b32_e32 v39, 16, v18
	v_lshlrev_b32_e32 v30, 2, v30
	s_clause 0x1
	global_load_dwordx4 v[32:35], v30, s[12:13] offset:68
	global_load_dwordx2 v[36:37], v30, s[12:13] offset:84
	v_mov_b32_e32 v30, 0x3b8
	s_waitcnt vmcnt(0)
	s_barrier
	buffer_gl0_inv
	v_mul_u32_u24_sdwa v38, v38, v30 dst_sel:DWORD dst_unused:UNUSED_PAD src0_sel:WORD_0 src1_sel:DWORD
	v_add3_u32 v29, 0, v38, v29
	v_mul_f16_sdwa v38, v32, v40 dst_sel:DWORD dst_unused:UNUSED_PAD src0_sel:WORD_1 src1_sel:DWORD
	v_mul_f16_sdwa v45, v32, v14 dst_sel:DWORD dst_unused:UNUSED_PAD src0_sel:WORD_1 src1_sel:DWORD
	;; [unrolled: 1-line block ×12, first 2 shown]
	v_fma_f16 v14, v32, v14, -v38
	v_fmac_f16_e32 v45, v32, v40
	v_fma_f16 v17, v33, v17, -v46
	v_fmac_f16_e32 v47, v33, v41
	;; [unrolled: 2-line block ×6, first 2 shown]
	v_add_f16_e32 v32, v14, v31
	v_add_f16_e32 v33, v45, v55
	;; [unrolled: 1-line block ×4, first 2 shown]
	v_sub_f16_e32 v14, v14, v31
	v_sub_f16_e32 v31, v45, v55
	;; [unrolled: 1-line block ×4, first 2 shown]
	v_add_f16_e32 v36, v18, v15
	v_add_f16_e32 v37, v49, v51
	v_sub_f16_e32 v15, v15, v18
	v_sub_f16_e32 v18, v51, v49
	v_add_f16_e32 v38, v34, v32
	v_add_f16_e32 v39, v35, v33
	v_sub_f16_e32 v40, v34, v32
	v_sub_f16_e32 v41, v35, v33
	;; [unrolled: 1-line block ×6, first 2 shown]
	v_add_f16_e32 v42, v15, v16
	v_add_f16_e32 v43, v18, v17
	v_sub_f16_e32 v44, v15, v16
	v_sub_f16_e32 v45, v18, v17
	;; [unrolled: 1-line block ×4, first 2 shown]
	v_add_f16_e32 v36, v36, v38
	v_add_f16_e32 v37, v37, v39
	v_sub_f16_e32 v15, v14, v15
	v_sub_f16_e32 v18, v31, v18
	v_add_f16_e32 v14, v42, v14
	v_add_f16_e32 v31, v43, v31
	v_mul_f16_e32 v32, 0x3a52, v32
	v_mul_f16_e32 v33, 0x3a52, v33
	;; [unrolled: 1-line block ×8, first 2 shown]
	v_add_f16_e32 v46, v36, v13
	v_add_f16_sdwa v13, v37, v13 dst_sel:DWORD dst_unused:UNUSED_PAD src0_sel:DWORD src1_sel:WORD_1
	v_fmamk_f16 v34, v34, 0x2b26, v32
	v_fmamk_f16 v35, v35, 0x2b26, v33
	v_fma_f16 v38, v40, 0x39e0, -v38
	v_fma_f16 v39, v41, 0x39e0, -v39
	;; [unrolled: 1-line block ×4, first 2 shown]
	v_fmamk_f16 v40, v15, 0x3574, v42
	v_fmamk_f16 v41, v18, 0x3574, v43
	v_fma_f16 v16, v16, 0x3b00, -v42
	v_fma_f16 v17, v17, 0x3b00, -v43
	;; [unrolled: 1-line block ×4, first 2 shown]
	v_fmamk_f16 v36, v36, 0xbcab, v46
	v_fmamk_f16 v37, v37, 0xbcab, v13
	v_fmac_f16_e32 v40, 0x370e, v14
	v_fmac_f16_e32 v41, 0x370e, v31
	;; [unrolled: 1-line block ×6, first 2 shown]
	v_add_f16_e32 v14, v34, v36
	v_add_f16_e32 v31, v35, v37
	;; [unrolled: 1-line block ×7, first 2 shown]
	v_sub_f16_e32 v37, v31, v40
	v_add_f16_e32 v38, v18, v32
	v_sub_f16_e32 v39, v33, v15
	v_sub_f16_e32 v42, v34, v17
	v_add_f16_e32 v43, v16, v35
	v_add_f16_e32 v17, v17, v34
	v_sub_f16_e32 v16, v35, v16
	v_sub_f16_e32 v18, v32, v18
	v_add_f16_e32 v15, v15, v33
	v_sub_f16_e32 v14, v14, v41
	v_add_f16_e32 v31, v40, v31
	v_pack_b32_f16 v13, v46, v13
	v_pack_b32_f16 v32, v36, v37
	;; [unrolled: 1-line block ×7, first 2 shown]
	ds_write2_b32 v29, v13, v32 offset1:34
	ds_write2_b32 v29, v33, v34 offset0:68 offset1:102
	ds_write2_b32 v29, v16, v15 offset0:136 offset1:170
	ds_write_b32 v29, v14 offset:816
	s_and_saveexec_b32 s1, s0
	s_cbranch_execz .LBB0_25
; %bb.24:
	v_lshrrev_b16 v20, 13, v20
	v_mul_lo_u16 v13, v20, 34
	v_mul_u32_u24_sdwa v20, v20, v30 dst_sel:DWORD dst_unused:UNUSED_PAD src0_sel:WORD_0 src1_sel:DWORD
	v_sub_nc_u16 v19, v19, v13
	v_mul_u32_u24_sdwa v13, v19, v28 dst_sel:DWORD dst_unused:UNUSED_PAD src0_sel:BYTE_0 src1_sel:DWORD
	v_mov_b32_e32 v28, 2
	v_lshlrev_b32_e32 v17, 2, v13
	v_lshlrev_b32_sdwa v19, v28, v19 dst_sel:DWORD dst_unused:UNUSED_PAD src0_sel:DWORD src1_sel:BYTE_0
	s_clause 0x1
	global_load_dwordx4 v[13:16], v17, s[12:13] offset:68
	global_load_dwordx2 v[17:18], v17, s[12:13] offset:84
	v_add3_u32 v19, 0, v20, v19
	s_waitcnt vmcnt(1)
	v_mul_f16_sdwa v20, v27, v13 dst_sel:DWORD dst_unused:UNUSED_PAD src0_sel:DWORD src1_sel:WORD_1
	s_waitcnt vmcnt(0)
	v_mul_f16_sdwa v28, v25, v18 dst_sel:DWORD dst_unused:UNUSED_PAD src0_sel:DWORD src1_sel:WORD_1
	v_mul_f16_sdwa v31, v22, v14 dst_sel:DWORD dst_unused:UNUSED_PAD src0_sel:DWORD src1_sel:WORD_1
	;; [unrolled: 1-line block ×11, first 2 shown]
	v_fma_f16 v10, v10, v13, -v20
	v_fma_f16 v4, v4, v18, -v28
	;; [unrolled: 1-line block ×4, first 2 shown]
	v_fmac_f16_e32 v33, v25, v18
	v_fmac_f16_e32 v34, v27, v13
	;; [unrolled: 1-line block ×4, first 2 shown]
	v_fma_f16 v7, v7, v16, -v29
	v_fma_f16 v12, v12, v15, -v30
	v_fmac_f16_e32 v35, v23, v15
	v_fmac_f16_e32 v36, v24, v16
	v_sub_f16_e32 v13, v10, v4
	v_sub_f16_e32 v15, v11, v8
	v_add_f16_e32 v16, v34, v33
	v_add_f16_e32 v18, v38, v37
	;; [unrolled: 1-line block ×4, first 2 shown]
	v_sub_f16_e32 v14, v7, v12
	v_add_f16_e32 v17, v35, v36
	v_add_f16_e32 v7, v12, v7
	v_sub_f16_e32 v10, v34, v33
	v_sub_f16_e32 v11, v36, v35
	;; [unrolled: 1-line block ×3, first 2 shown]
	v_add_f16_e32 v25, v18, v16
	v_add_f16_e32 v28, v8, v4
	v_sub_f16_e32 v20, v13, v14
	v_sub_f16_e32 v22, v14, v15
	v_add_f16_e32 v14, v14, v15
	v_sub_f16_e32 v23, v16, v17
	v_sub_f16_e32 v24, v17, v18
	;; [unrolled: 1-line block ×6, first 2 shown]
	v_add_f16_e32 v11, v11, v12
	v_sub_f16_e32 v15, v15, v13
	v_sub_f16_e32 v4, v8, v4
	v_sub_f16_e32 v8, v12, v10
	v_add_f16_e32 v17, v17, v25
	v_add_f16_e32 v7, v7, v28
	v_mul_f16_e32 v12, 0xb846, v22
	v_add_f16_e32 v13, v14, v13
	v_mul_f16_e32 v14, 0x3a52, v23
	v_mul_f16_e32 v22, 0x3a52, v26
	;; [unrolled: 1-line block ×3, first 2 shown]
	v_add_f16_e32 v10, v11, v10
	v_mul_f16_e32 v11, 0x3b00, v15
	v_mul_f16_e32 v26, 0x3b00, v8
	v_add_f16_e32 v21, v21, v17
	v_add_f16_e32 v9, v9, v7
	v_sub_f16_e32 v16, v18, v16
	v_mul_f16_e32 v18, 0x2b26, v24
	v_mul_f16_e32 v23, 0x2b26, v27
	v_fmamk_f16 v28, v20, 0x3574, v12
	v_fmamk_f16 v24, v24, 0x2b26, v14
	;; [unrolled: 1-line block ×4, first 2 shown]
	v_fma_f16 v11, v20, 0xb574, -v11
	v_fma_f16 v20, v4, 0xb9e0, -v22
	;; [unrolled: 1-line block ×5, first 2 shown]
	v_fmamk_f16 v15, v17, 0xbcab, v21
	v_fmamk_f16 v7, v7, 0xbcab, v9
	v_fma_f16 v14, v16, 0xb9e0, -v14
	v_fma_f16 v16, v16, 0x39e0, -v18
	;; [unrolled: 1-line block ×3, first 2 shown]
	v_fmac_f16_e32 v28, 0x370e, v13
	v_fmac_f16_e32 v30, 0x370e, v10
	;; [unrolled: 1-line block ×6, first 2 shown]
	v_add_f16_e32 v10, v24, v15
	v_add_f16_e32 v13, v27, v7
	v_add_f16_e32 v14, v14, v15
	v_add_f16_e32 v17, v20, v7
	v_add_f16_e32 v15, v16, v15
	v_add_f16_e32 v4, v4, v7
	v_add_f16_e32 v7, v28, v10
	v_sub_f16_e32 v16, v13, v30
	v_sub_f16_e32 v10, v10, v28
	v_add_f16_e32 v13, v30, v13
	v_add_f16_e32 v18, v11, v14
	v_sub_f16_e32 v20, v15, v12
	v_add_f16_e32 v12, v12, v15
	v_sub_f16_e32 v11, v14, v11
	;; [unrolled: 2-line block ×4, first 2 shown]
	v_pack_b32_f16 v9, v9, v21
	v_pack_b32_f16 v10, v13, v10
	;; [unrolled: 1-line block ×7, first 2 shown]
	ds_write2_b32 v19, v9, v10 offset1:34
	ds_write2_b32 v19, v11, v12 offset0:68 offset1:102
	ds_write2_b32 v19, v4, v8 offset0:136 offset1:170
	ds_write_b32 v19, v7 offset:816
.LBB0_25:
	s_or_b32 exec_lo, exec_lo, s1
	v_mul_u32_u24_e32 v4, 5, v3
	s_waitcnt lgkmcnt(0)
	s_barrier
	buffer_gl0_inv
	v_add_nc_u32_e32 v28, 0x200, v0
	v_lshlrev_b32_e32 v4, 2, v4
	v_add_nc_u32_e32 v29, 0x600, v0
	v_add_nc_u32_e32 v30, 0xa00, v0
	v_add_nc_u32_e32 v31, 0xe00, v0
	v_add_nc_u32_e32 v32, 0x1200, v0
	s_clause 0x1
	global_load_dwordx4 v[7:10], v4, s[12:13] offset:884
	global_load_dword v27, v4, s[12:13] offset:900
	v_add_co_u32 v4, s0, s12, v4
	v_add_co_ci_u32_e64 v11, null, s13, 0, s0
	v_add_co_u32 v15, s0, 0x94c, v4
	v_add_co_ci_u32_e64 v16, s0, 0, v11, s0
	s_clause 0x1
	global_load_dwordx4 v[11:14], v[15:16], off offset:884
	global_load_dword v4, v[15:16], off offset:900
	ds_read2_b32 v[15:16], v0 offset1:119
	ds_read2_b32 v[17:18], v28 offset0:110 offset1:229
	ds_read2_b32 v[19:20], v29 offset0:92 offset1:211
	;; [unrolled: 1-line block ×5, first 2 shown]
	s_waitcnt vmcnt(0) lgkmcnt(0)
	s_barrier
	buffer_gl0_inv
	v_lshrrev_b32_e32 v40, 16, v17
	v_lshrrev_b32_e32 v41, 16, v19
	;; [unrolled: 1-line block ×12, first 2 shown]
	v_mul_f16_sdwa v46, v7, v17 dst_sel:DWORD dst_unused:UNUSED_PAD src0_sel:WORD_1 src1_sel:DWORD
	v_mul_f16_sdwa v50, v9, v21 dst_sel:DWORD dst_unused:UNUSED_PAD src0_sel:WORD_1 src1_sel:DWORD
	;; [unrolled: 1-line block ×10, first 2 shown]
	v_fmac_f16_e32 v46, v7, v40
	v_fmac_f16_e32 v50, v9, v42
	;; [unrolled: 1-line block ×3, first 2 shown]
	v_fma_f16 v17, v7, v17, -v45
	v_fma_f16 v7, v8, v19, -v47
	v_fmac_f16_e32 v48, v8, v41
	v_fma_f16 v8, v9, v21, -v49
	v_fma_f16 v9, v10, v23, -v51
	v_fmac_f16_e32 v52, v10, v43
	v_fma_f16 v10, v27, v25, -v53
	v_mul_f16_sdwa v19, v35, v11 dst_sel:DWORD dst_unused:UNUSED_PAD src0_sel:DWORD src1_sel:WORD_1
	v_mul_f16_sdwa v21, v18, v11 dst_sel:DWORD dst_unused:UNUSED_PAD src0_sel:DWORD src1_sel:WORD_1
	;; [unrolled: 1-line block ×10, first 2 shown]
	v_sub_f16_e32 v56, v50, v54
	v_add_f16_e32 v57, v46, v50
	v_add_f16_e32 v50, v50, v54
	;; [unrolled: 1-line block ×4, first 2 shown]
	v_sub_f16_e32 v49, v48, v52
	v_add_f16_e32 v51, v33, v48
	v_add_f16_e32 v48, v48, v52
	;; [unrolled: 1-line block ×4, first 2 shown]
	v_sub_f16_e32 v8, v8, v10
	v_fma_f16 v18, v18, v11, -v19
	v_fmac_f16_e32 v21, v35, v11
	v_fma_f16 v11, v20, v12, -v23
	v_fmac_f16_e32 v25, v36, v12
	v_fma_f16 v12, v22, v13, -v27
	v_fmac_f16_e32 v40, v37, v13
	v_fma_f16 v13, v24, v14, -v41
	v_fmac_f16_e32 v42, v38, v14
	v_fma_f16 v14, v26, v4, -v43
	v_fmac_f16_e32 v44, v39, v4
	v_fmac_f16_e32 v46, -0.5, v50
	v_sub_f16_e32 v7, v7, v9
	v_add_f16_e32 v4, v45, v9
	v_fma_f16 v9, -0.5, v47, v15
	v_add_f16_e32 v15, v51, v52
	v_fmac_f16_e32 v33, -0.5, v48
	v_add_f16_e32 v10, v53, v10
	v_fmac_f16_e32 v17, -0.5, v55
	v_add_f16_e32 v19, v57, v54
	v_fmamk_f16 v23, v8, 0xbaee, v46
	v_fmac_f16_e32 v46, 0x3aee, v8
	v_sub_f16_e32 v26, v25, v42
	v_add_f16_e32 v27, v34, v25
	v_add_f16_e32 v25, v25, v42
	;; [unrolled: 1-line block ×4, first 2 shown]
	v_fmamk_f16 v22, v7, 0xbaee, v33
	v_fmac_f16_e32 v33, 0x3aee, v7
	v_fmamk_f16 v7, v56, 0x3aee, v17
	v_fmac_f16_e32 v17, 0xbaee, v56
	v_add_f16_e32 v8, v4, v10
	v_add_f16_e32 v24, v15, v19
	v_sub_f16_e32 v4, v4, v10
	v_sub_f16_e32 v10, v15, v19
	v_add_f16_e32 v15, v16, v11
	v_add_f16_e32 v19, v11, v13
	v_sub_f16_e32 v11, v11, v13
	v_add_f16_e32 v35, v18, v12
	v_sub_f16_e32 v37, v40, v44
	;; [unrolled: 2-line block ×3, first 2 shown]
	v_mul_f16_e32 v45, -0.5, v46
	v_fmac_f16_e32 v34, -0.5, v25
	v_fmac_f16_e32 v18, -0.5, v36
	;; [unrolled: 1-line block ×3, first 2 shown]
	v_mul_f16_e32 v41, -0.5, v17
	v_pack_b32_f16 v4, v4, v10
	v_fmac_f16_e32 v45, 0xbaee, v17
	v_fmamk_f16 v10, v11, 0xbaee, v34
	v_fmac_f16_e32 v34, 0x3aee, v11
	v_fmamk_f16 v11, v37, 0x3aee, v18
	v_fmamk_f16 v17, v12, 0xbaee, v21
	v_mul_f16_e32 v40, 0x3aee, v23
	v_mul_f16_e32 v43, 0xbaee, v7
	v_fmac_f16_e32 v16, -0.5, v19
	v_fmac_f16_e32 v18, 0xbaee, v37
	v_fmac_f16_e32 v21, 0x3aee, v12
	v_fmamk_f16 v20, v49, 0x3aee, v9
	v_fmac_f16_e32 v9, 0xbaee, v49
	v_add_f16_e32 v13, v15, v13
	v_add_f16_e32 v15, v27, v42
	;; [unrolled: 1-line block ×4, first 2 shown]
	v_fmac_f16_e32 v41, 0x3aee, v46
	v_mul_f16_e32 v27, 0x3aee, v17
	v_mul_f16_e32 v35, 0xbaee, v11
	v_fmac_f16_e32 v40, 0.5, v7
	v_fmac_f16_e32 v43, 0.5, v23
	v_fmamk_f16 v7, v26, 0x3aee, v16
	v_fmac_f16_e32 v16, 0xbaee, v26
	v_add_f16_e32 v25, v33, v45
	v_sub_f16_e32 v26, v33, v45
	v_mul_f16_e32 v33, -0.5, v18
	v_mul_f16_e32 v36, -0.5, v21
	v_add_f16_e32 v12, v13, v14
	v_add_f16_e32 v23, v15, v19
	v_sub_f16_e32 v13, v13, v14
	v_sub_f16_e32 v14, v15, v19
	v_add_f16_e32 v19, v9, v41
	v_fmac_f16_e32 v27, 0.5, v11
	v_fmac_f16_e32 v35, 0.5, v17
	v_pack_b32_f16 v8, v8, v24
	v_add_f16_e32 v15, v20, v40
	v_add_f16_e32 v24, v22, v43
	v_sub_f16_e32 v20, v20, v40
	v_sub_f16_e32 v22, v22, v43
	v_fmac_f16_e32 v33, 0x3aee, v21
	v_fmac_f16_e32 v36, 0xbaee, v18
	v_pack_b32_f16 v12, v12, v23
	v_pack_b32_f16 v13, v13, v14
	;; [unrolled: 1-line block ×3, first 2 shown]
	v_add_f16_e32 v17, v7, v27
	v_add_f16_e32 v19, v10, v35
	v_pack_b32_f16 v11, v15, v24
	v_pack_b32_f16 v15, v20, v22
	v_add_f16_e32 v18, v16, v33
	v_add_f16_e32 v20, v34, v36
	v_sub_f16_e32 v7, v7, v27
	v_sub_f16_e32 v10, v10, v35
	;; [unrolled: 1-line block ×5, first 2 shown]
	ds_write2_b32 v0, v8, v12 offset1:119
	v_pack_b32_f16 v0, v17, v19
	v_pack_b32_f16 v8, v18, v20
	v_pack_b32_f16 v7, v7, v10
	v_pack_b32_f16 v9, v9, v26
	v_pack_b32_f16 v10, v16, v21
	ds_write2_b32 v30, v4, v13 offset0:74 offset1:193
	ds_write2_b32 v28, v11, v0 offset0:110 offset1:229
	;; [unrolled: 1-line block ×5, first 2 shown]
	s_waitcnt lgkmcnt(0)
	s_barrier
	buffer_gl0_inv
	s_and_saveexec_b32 s0, vcc_lo
	s_cbranch_execz .LBB0_27
; %bb.26:
	v_mul_lo_u32 v0, s3, v5
	v_mul_lo_u32 v7, s2, v6
	v_mad_u64_u32 v[5:6], null, s2, v5, 0
	v_lshl_add_u32 v19, v3, 2, 0
	v_mov_b32_e32 v4, 0
	v_add_nc_u32_e32 v9, 0xee, v3
	v_add_nc_u32_e32 v17, 0x341, v3
	ds_read2_b32 v[11:12], v19 offset1:119
	v_add3_u32 v6, v6, v7, v0
	v_lshlrev_b64 v[0:1], 2, v[1:2]
	v_add_nc_u32_e32 v2, 0x200, v19
	v_add_nc_u32_e32 v7, 0x77, v3
	v_mov_b32_e32 v8, v4
	v_lshlrev_b64 v[5:6], 2, v[5:6]
	v_lshlrev_b64 v[13:14], 2, v[3:4]
	v_mov_b32_e32 v10, v4
	v_mov_b32_e32 v18, v4
	v_add_co_u32 v15, vcc_lo, s10, v5
	v_add_co_ci_u32_e32 v16, vcc_lo, s11, v6, vcc_lo
	ds_read2_b32 v[5:6], v2 offset0:110 offset1:229
	v_add_co_u32 v20, vcc_lo, v15, v0
	v_add_co_ci_u32_e32 v21, vcc_lo, v16, v1, vcc_lo
	v_lshlrev_b64 v[0:1], 2, v[7:8]
	v_add_co_u32 v7, vcc_lo, v20, v13
	v_lshlrev_b64 v[9:10], 2, v[9:10]
	v_add_co_ci_u32_e32 v8, vcc_lo, v21, v14, vcc_lo
	v_add_co_u32 v0, vcc_lo, v20, v0
	v_add_co_ci_u32_e32 v1, vcc_lo, v21, v1, vcc_lo
	v_add_co_u32 v9, vcc_lo, v20, v9
	v_add_co_ci_u32_e32 v10, vcc_lo, v21, v10, vcc_lo
	v_add_nc_u32_e32 v13, 0x165, v3
	v_mov_b32_e32 v14, v4
	v_add_nc_u32_e32 v2, 0x600, v19
	s_waitcnt lgkmcnt(1)
	global_store_dword v[7:8], v11, off
	global_store_dword v[0:1], v12, off
	s_waitcnt lgkmcnt(0)
	global_store_dword v[9:10], v5, off
	v_add_nc_u32_e32 v5, 0xa00, v19
	v_add_nc_u32_e32 v7, 0x1dc, v3
	v_mov_b32_e32 v8, v4
	v_lshlrev_b64 v[0:1], 2, v[13:14]
	ds_read2_b32 v[11:12], v2 offset0:92 offset1:211
	v_add_nc_u32_e32 v9, 0x253, v3
	v_mov_b32_e32 v10, v4
	ds_read2_b32 v[15:16], v5 offset0:74 offset1:193
	v_lshlrev_b64 v[7:8], 2, v[7:8]
	v_add_nc_u32_e32 v13, 0x2ca, v3
	v_add_co_u32 v0, vcc_lo, v20, v0
	v_lshlrev_b64 v[9:10], 2, v[9:10]
	v_add_co_ci_u32_e32 v1, vcc_lo, v21, v1, vcc_lo
	v_add_co_u32 v7, vcc_lo, v20, v7
	v_lshlrev_b64 v[13:14], 2, v[13:14]
	v_add_co_ci_u32_e32 v8, vcc_lo, v21, v8, vcc_lo
	v_add_co_u32 v9, vcc_lo, v20, v9
	v_add_co_ci_u32_e32 v10, vcc_lo, v21, v10, vcc_lo
	v_add_co_u32 v13, vcc_lo, v20, v13
	v_add_nc_u32_e32 v2, 0xe00, v19
	v_add_co_ci_u32_e32 v14, vcc_lo, v21, v14, vcc_lo
	global_store_dword v[0:1], v6, off
	s_waitcnt lgkmcnt(1)
	global_store_dword v[7:8], v11, off
	global_store_dword v[9:10], v12, off
	s_waitcnt lgkmcnt(0)
	global_store_dword v[13:14], v15, off
	v_add_nc_u32_e32 v5, 0x3b8, v3
	v_mov_b32_e32 v6, v4
	ds_read2_b32 v[9:10], v2 offset0:56 offset1:175
	v_add_nc_u32_e32 v2, 0x1200, v19
	v_lshlrev_b64 v[0:1], 2, v[17:18]
	v_add_nc_u32_e32 v7, 0x42f, v3
	v_mov_b32_e32 v8, v4
	v_lshlrev_b64 v[5:6], 2, v[5:6]
	v_add_nc_u32_e32 v11, 0x4a6, v3
	v_mov_b32_e32 v12, v4
	ds_read2_b32 v[13:14], v2 offset0:38 offset1:157
	v_add_co_u32 v0, vcc_lo, v20, v0
	v_lshlrev_b64 v[7:8], 2, v[7:8]
	v_add_nc_u32_e32 v3, 0x51d, v3
	v_add_co_ci_u32_e32 v1, vcc_lo, v21, v1, vcc_lo
	v_add_co_u32 v5, vcc_lo, v20, v5
	v_lshlrev_b64 v[11:12], 2, v[11:12]
	v_add_co_ci_u32_e32 v6, vcc_lo, v21, v6, vcc_lo
	v_add_co_u32 v7, vcc_lo, v20, v7
	v_lshlrev_b64 v[2:3], 2, v[3:4]
	v_add_co_ci_u32_e32 v8, vcc_lo, v21, v8, vcc_lo
	v_add_co_u32 v11, vcc_lo, v20, v11
	v_add_co_ci_u32_e32 v12, vcc_lo, v21, v12, vcc_lo
	v_add_co_u32 v2, vcc_lo, v20, v2
	v_add_co_ci_u32_e32 v3, vcc_lo, v21, v3, vcc_lo
	global_store_dword v[0:1], v16, off
	s_waitcnt lgkmcnt(1)
	global_store_dword v[5:6], v9, off
	global_store_dword v[7:8], v10, off
	s_waitcnt lgkmcnt(0)
	global_store_dword v[11:12], v13, off
	global_store_dword v[2:3], v14, off
.LBB0_27:
	s_endpgm
	.section	.rodata,"a",@progbits
	.p2align	6, 0x0
	.amdhsa_kernel fft_rtc_fwd_len1428_factors_17_2_7_6_wgs_119_tpt_119_halfLds_half_op_CI_CI_unitstride_sbrr_C2R_dirReg
		.amdhsa_group_segment_fixed_size 0
		.amdhsa_private_segment_fixed_size 0
		.amdhsa_kernarg_size 104
		.amdhsa_user_sgpr_count 6
		.amdhsa_user_sgpr_private_segment_buffer 1
		.amdhsa_user_sgpr_dispatch_ptr 0
		.amdhsa_user_sgpr_queue_ptr 0
		.amdhsa_user_sgpr_kernarg_segment_ptr 1
		.amdhsa_user_sgpr_dispatch_id 0
		.amdhsa_user_sgpr_flat_scratch_init 0
		.amdhsa_user_sgpr_private_segment_size 0
		.amdhsa_wavefront_size32 1
		.amdhsa_uses_dynamic_stack 0
		.amdhsa_system_sgpr_private_segment_wavefront_offset 0
		.amdhsa_system_sgpr_workgroup_id_x 1
		.amdhsa_system_sgpr_workgroup_id_y 0
		.amdhsa_system_sgpr_workgroup_id_z 0
		.amdhsa_system_sgpr_workgroup_info 0
		.amdhsa_system_vgpr_workitem_id 0
		.amdhsa_next_free_vgpr 132
		.amdhsa_next_free_sgpr 27
		.amdhsa_reserve_vcc 1
		.amdhsa_reserve_flat_scratch 0
		.amdhsa_float_round_mode_32 0
		.amdhsa_float_round_mode_16_64 0
		.amdhsa_float_denorm_mode_32 3
		.amdhsa_float_denorm_mode_16_64 3
		.amdhsa_dx10_clamp 1
		.amdhsa_ieee_mode 1
		.amdhsa_fp16_overflow 0
		.amdhsa_workgroup_processor_mode 1
		.amdhsa_memory_ordered 1
		.amdhsa_forward_progress 0
		.amdhsa_shared_vgpr_count 0
		.amdhsa_exception_fp_ieee_invalid_op 0
		.amdhsa_exception_fp_denorm_src 0
		.amdhsa_exception_fp_ieee_div_zero 0
		.amdhsa_exception_fp_ieee_overflow 0
		.amdhsa_exception_fp_ieee_underflow 0
		.amdhsa_exception_fp_ieee_inexact 0
		.amdhsa_exception_int_div_zero 0
	.end_amdhsa_kernel
	.text
.Lfunc_end0:
	.size	fft_rtc_fwd_len1428_factors_17_2_7_6_wgs_119_tpt_119_halfLds_half_op_CI_CI_unitstride_sbrr_C2R_dirReg, .Lfunc_end0-fft_rtc_fwd_len1428_factors_17_2_7_6_wgs_119_tpt_119_halfLds_half_op_CI_CI_unitstride_sbrr_C2R_dirReg
                                        ; -- End function
	.section	.AMDGPU.csdata,"",@progbits
; Kernel info:
; codeLenInByte = 12752
; NumSgprs: 29
; NumVgprs: 132
; ScratchSize: 0
; MemoryBound: 0
; FloatMode: 240
; IeeeMode: 1
; LDSByteSize: 0 bytes/workgroup (compile time only)
; SGPRBlocks: 3
; VGPRBlocks: 16
; NumSGPRsForWavesPerEU: 29
; NumVGPRsForWavesPerEU: 132
; Occupancy: 7
; WaveLimiterHint : 1
; COMPUTE_PGM_RSRC2:SCRATCH_EN: 0
; COMPUTE_PGM_RSRC2:USER_SGPR: 6
; COMPUTE_PGM_RSRC2:TRAP_HANDLER: 0
; COMPUTE_PGM_RSRC2:TGID_X_EN: 1
; COMPUTE_PGM_RSRC2:TGID_Y_EN: 0
; COMPUTE_PGM_RSRC2:TGID_Z_EN: 0
; COMPUTE_PGM_RSRC2:TIDIG_COMP_CNT: 0
	.text
	.p2alignl 6, 3214868480
	.fill 48, 4, 3214868480
	.type	__hip_cuid_491d9adeebd084e1,@object ; @__hip_cuid_491d9adeebd084e1
	.section	.bss,"aw",@nobits
	.globl	__hip_cuid_491d9adeebd084e1
__hip_cuid_491d9adeebd084e1:
	.byte	0                               ; 0x0
	.size	__hip_cuid_491d9adeebd084e1, 1

	.ident	"AMD clang version 19.0.0git (https://github.com/RadeonOpenCompute/llvm-project roc-6.4.0 25133 c7fe45cf4b819c5991fe208aaa96edf142730f1d)"
	.section	".note.GNU-stack","",@progbits
	.addrsig
	.addrsig_sym __hip_cuid_491d9adeebd084e1
	.amdgpu_metadata
---
amdhsa.kernels:
  - .args:
      - .actual_access:  read_only
        .address_space:  global
        .offset:         0
        .size:           8
        .value_kind:     global_buffer
      - .offset:         8
        .size:           8
        .value_kind:     by_value
      - .actual_access:  read_only
        .address_space:  global
        .offset:         16
        .size:           8
        .value_kind:     global_buffer
      - .actual_access:  read_only
        .address_space:  global
        .offset:         24
        .size:           8
        .value_kind:     global_buffer
      - .actual_access:  read_only
        .address_space:  global
        .offset:         32
        .size:           8
        .value_kind:     global_buffer
      - .offset:         40
        .size:           8
        .value_kind:     by_value
      - .actual_access:  read_only
        .address_space:  global
        .offset:         48
        .size:           8
        .value_kind:     global_buffer
      - .actual_access:  read_only
        .address_space:  global
        .offset:         56
        .size:           8
        .value_kind:     global_buffer
      - .offset:         64
        .size:           4
        .value_kind:     by_value
      - .actual_access:  read_only
        .address_space:  global
        .offset:         72
        .size:           8
        .value_kind:     global_buffer
      - .actual_access:  read_only
        .address_space:  global
        .offset:         80
        .size:           8
        .value_kind:     global_buffer
      - .actual_access:  read_only
        .address_space:  global
        .offset:         88
        .size:           8
        .value_kind:     global_buffer
      - .actual_access:  write_only
        .address_space:  global
        .offset:         96
        .size:           8
        .value_kind:     global_buffer
    .group_segment_fixed_size: 0
    .kernarg_segment_align: 8
    .kernarg_segment_size: 104
    .language:       OpenCL C
    .language_version:
      - 2
      - 0
    .max_flat_workgroup_size: 119
    .name:           fft_rtc_fwd_len1428_factors_17_2_7_6_wgs_119_tpt_119_halfLds_half_op_CI_CI_unitstride_sbrr_C2R_dirReg
    .private_segment_fixed_size: 0
    .sgpr_count:     29
    .sgpr_spill_count: 0
    .symbol:         fft_rtc_fwd_len1428_factors_17_2_7_6_wgs_119_tpt_119_halfLds_half_op_CI_CI_unitstride_sbrr_C2R_dirReg.kd
    .uniform_work_group_size: 1
    .uses_dynamic_stack: false
    .vgpr_count:     132
    .vgpr_spill_count: 0
    .wavefront_size: 32
    .workgroup_processor_mode: 1
amdhsa.target:   amdgcn-amd-amdhsa--gfx1030
amdhsa.version:
  - 1
  - 2
...

	.end_amdgpu_metadata
